;; amdgpu-corpus repo=ROCm/rocFFT kind=compiled arch=gfx950 opt=O3
	.text
	.amdgcn_target "amdgcn-amd-amdhsa--gfx950"
	.amdhsa_code_object_version 6
	.protected	bluestein_single_back_len4050_dim1_sp_op_CI_CI ; -- Begin function bluestein_single_back_len4050_dim1_sp_op_CI_CI
	.globl	bluestein_single_back_len4050_dim1_sp_op_CI_CI
	.p2align	8
	.type	bluestein_single_back_len4050_dim1_sp_op_CI_CI,@function
bluestein_single_back_len4050_dim1_sp_op_CI_CI: ; @bluestein_single_back_len4050_dim1_sp_op_CI_CI
; %bb.0:
	s_load_dwordx4 s[12:15], s[0:1], 0x28
	v_mul_u32_u24_e32 v1, 0x1e6, v0
	v_add_u32_sdwa v196, s2, v1 dst_sel:DWORD dst_unused:UNUSED_PAD src0_sel:DWORD src1_sel:WORD_1
	v_mov_b32_e32 v197, 0
	s_waitcnt lgkmcnt(0)
	v_cmp_gt_u64_e32 vcc, s[12:13], v[196:197]
	s_and_saveexec_b64 s[2:3], vcc
	s_cbranch_execz .LBB0_2
; %bb.1:
	s_load_dwordx4 s[4:7], s[0:1], 0x0
	s_load_dwordx4 s[8:11], s[0:1], 0x18
	s_load_dwordx2 s[2:3], s[0:1], 0x38
	s_movk_i32 s0, 0x87
	v_mul_lo_u16_sdwa v1, v1, s0 dst_sel:DWORD dst_unused:UNUSED_PAD src0_sel:WORD_1 src1_sel:DWORD
	s_mov_b32 s0, 0
	v_mov_b32_e32 v81, s0
	s_waitcnt lgkmcnt(0)
	v_mov_b32_e32 v4, s2
	v_mov_b32_e32 v5, s3
	s_load_dwordx4 s[0:3], s[10:11], 0x0
	v_accvgpr_write_b32 a7, v5
	v_accvgpr_write_b32 a6, v4
	v_sub_u16_e32 v80, v0, v1
	v_mov_b32_e32 v2, s14
	s_waitcnt lgkmcnt(0)
	v_mad_u64_u32 v[4:5], s[10:11], s2, v196, 0
	s_load_dwordx4 s[8:11], s[8:9], 0x0
	v_mov_b32_e32 v0, v5
	v_mad_u64_u32 v[0:1], s[2:3], s3, v196, v[0:1]
	v_mov_b32_e32 v5, v0
	v_accvgpr_write_b32 a11, v5
	s_waitcnt lgkmcnt(0)
	v_mad_u64_u32 v[0:1], s[2:3], s10, v196, 0
	v_accvgpr_write_b32 a10, v4
	v_mov_b32_e32 v4, v1
	v_mad_u64_u32 v[4:5], s[2:3], s11, v196, v[4:5]
	v_mov_b32_e32 v1, v4
	v_mad_u64_u32 v[4:5], s[2:3], s8, v80, 0
	v_mov_b32_e32 v6, v5
	v_mov_b32_e32 v3, s15
	v_mad_u64_u32 v[6:7], s[2:3], s9, v80, v[6:7]
	v_mov_b32_e32 v5, v6
	v_lshl_add_u64 v[0:1], v[0:1], 3, v[2:3]
	v_lshl_add_u64 v[2:3], v[4:5], 3, v[0:1]
	v_lshlrev_b32_e32 v196, 3, v80
	global_load_dwordx2 v[4:5], v[2:3], off
	global_load_dwordx2 v[6:7], v196, s[4:5]
	s_mov_b64 s[2:3], 0x195
	v_mov_b32_e32 v20, 0xca8
	v_lshl_add_u64 v[132:133], v[80:81], 0, s[2:3]
	v_mad_u64_u32 v[2:3], s[2:3], s8, v20, v[2:3]
	s_mul_i32 s2, s9, 0xca8
	s_nop 0
	v_add_u32_e32 v3, s2, v3
	v_lshl_add_u64 v[216:217], s[4:5], 0, v[196:197]
	s_mov_b64 s[10:11], 0x32a
	s_movk_i32 s13, 0x1000
	v_lshl_add_u64 v[170:171], v[80:81], 0, s[10:11]
	v_add_co_u32_e32 v12, vcc, s13, v216
	s_movk_i32 s3, 0x2000
	s_nop 0
	v_addc_co_u32_e32 v13, vcc, 0, v217, vcc
	s_mulk_i32 s9, 0x9250
	s_sub_i32 s9, s9, s8
	v_mov_b32_e32 v36, 0xca8
	v_mov_b32_e32 v34, 0xffff9250
	v_add_u32_e32 v127, 0x1c00, v196
	v_add_u32_e32 v244, 0x6800, v196
	s_mov_b32 s16, 0x3f4f1bbd
	s_mov_b32 s18, 0xbf737871
	;; [unrolled: 1-line block ×4, first 2 shown]
	s_waitcnt vmcnt(0)
	v_accvgpr_write_b32 a29, v7
	v_mul_f32_e32 v0, v5, v7
	v_mul_f32_e32 v1, v4, v7
	v_fmac_f32_e32 v0, v4, v6
	v_fma_f32 v1, v5, v6, -v1
	global_load_dwordx2 v[4:5], v[2:3], off
	global_load_dwordx2 v[8:9], v196, s[4:5] offset:3240
	v_accvgpr_write_b32 a28, v6
	v_mad_u64_u32 v[2:3], s[10:11], s8, v20, v[2:3]
	v_add_u32_e32 v3, s2, v3
	s_mov_b64 s[10:11], 0x4bf
	v_lshl_add_u64 v[168:169], v[80:81], 0, s[10:11]
	s_waitcnt vmcnt(0)
	v_mul_f32_e32 v6, v5, v9
	v_fmac_f32_e32 v6, v4, v8
	v_mul_f32_e32 v4, v4, v9
	v_accvgpr_write_b32 a19, v9
	v_fma_f32 v7, v5, v8, -v4
	v_accvgpr_write_b32 a18, v8
	global_load_dwordx2 v[4:5], v[2:3], off
	global_load_dwordx2 v[8:9], v[12:13], off offset:2384
	ds_write_b64 v196, v[6:7] offset:3240
	v_mad_u64_u32 v[2:3], s[10:11], s8, v20, v[2:3]
	v_add_u32_e32 v3, s2, v3
	s_waitcnt vmcnt(0)
	v_mul_f32_e32 v6, v5, v9
	v_fmac_f32_e32 v6, v4, v8
	v_mul_f32_e32 v4, v4, v9
	v_accvgpr_write_b32 a27, v9
	v_fma_f32 v7, v5, v8, -v4
	v_accvgpr_write_b32 a26, v8
	v_add_co_u32_e32 v8, vcc, s3, v216
	global_load_dwordx2 v[4:5], v[2:3], off
	s_nop 0
	v_addc_co_u32_e32 v9, vcc, 0, v217, vcc
	global_load_dwordx2 v[10:11], v[8:9], off offset:1528
	ds_write_b64 v196, v[6:7] offset:6480
	v_mad_u64_u32 v[2:3], s[10:11], s8, v20, v[2:3]
	s_movk_i32 s10, 0x3000
	v_add_u32_e32 v3, s2, v3
	s_waitcnt vmcnt(0)
	v_mul_f32_e32 v6, v5, v11
	v_fmac_f32_e32 v6, v4, v10
	v_mul_f32_e32 v4, v4, v11
	v_fma_f32 v7, v5, v10, -v4
	ds_write_b64 v196, v[6:7] offset:9720
	v_add_co_u32_e32 v6, vcc, s10, v216
	global_load_dwordx2 v[4:5], v[2:3], off
	s_nop 0
	v_addc_co_u32_e32 v7, vcc, 0, v217, vcc
	global_load_dwordx2 v[14:15], v[6:7], off offset:672
	v_accvgpr_write_b32 a35, v11
	v_accvgpr_write_b32 a34, v10
	v_mad_u64_u32 v[2:3], s[10:11], s8, v20, v[2:3]
	v_add_u32_e32 v3, s2, v3
	s_waitcnt vmcnt(0)
	v_mul_f32_e32 v10, v5, v15
	v_fmac_f32_e32 v10, v4, v14
	v_mul_f32_e32 v4, v4, v15
	v_fma_f32 v11, v5, v14, -v4
	v_accvgpr_write_b32 a37, v15
	ds_write_b64 v196, v[10:11] offset:12960
	v_accvgpr_write_b32 a36, v14
	global_load_dwordx2 v[4:5], v[2:3], off
	global_load_dwordx2 v[14:15], v[6:7], off offset:3912
	v_mad_u64_u32 v[2:3], s[10:11], s8, v20, v[2:3]
	s_movk_i32 s10, 0x4000
	v_add_u32_e32 v3, s2, v3
	s_waitcnt vmcnt(0)
	v_mul_f32_e32 v10, v5, v15
	v_fmac_f32_e32 v10, v4, v14
	v_mul_f32_e32 v4, v4, v15
	v_fma_f32 v11, v5, v14, -v4
	v_add_co_u32_e32 v4, vcc, s10, v216
	ds_write_b64 v196, v[10:11] offset:16200
	s_nop 0
	v_addc_co_u32_e32 v5, vcc, 0, v217, vcc
	global_load_dwordx2 v[10:11], v[2:3], off
	global_load_dwordx2 v[16:17], v[4:5], off offset:3056
	v_accvgpr_write_b32 a23, v15
	v_accvgpr_write_b32 a22, v14
	v_mad_u64_u32 v[2:3], s[10:11], s8, v20, v[2:3]
	s_movk_i32 s10, 0x5000
	v_add_u32_e32 v3, s2, v3
	s_waitcnt vmcnt(0)
	v_mul_f32_e32 v14, v11, v17
	v_fmac_f32_e32 v14, v10, v16
	v_mul_f32_e32 v10, v10, v17
	v_fma_f32 v15, v11, v16, -v10
	v_add_co_u32_e32 v10, vcc, s10, v216
	ds_write_b64 v196, v[14:15] offset:19440
	s_nop 0
	v_addc_co_u32_e32 v11, vcc, 0, v217, vcc
	global_load_dwordx2 v[14:15], v[2:3], off
	global_load_dwordx2 v[18:19], v[10:11], off offset:2200
	v_accvgpr_write_b32 a31, v17
	v_accvgpr_write_b32 a30, v16
	s_waitcnt vmcnt(0)
	v_mul_f32_e32 v16, v15, v19
	v_fmac_f32_e32 v16, v14, v18
	v_mul_f32_e32 v14, v14, v19
	v_fma_f32 v17, v15, v18, -v14
	v_mad_u64_u32 v[14:15], s[10:11], s8, v20, v[2:3]
	s_movk_i32 s10, 0x6000
	s_nop 0
	v_add_co_u32_e32 v2, vcc, s10, v216
	v_add_u32_e32 v15, s2, v15
	s_nop 0
	v_addc_co_u32_e32 v3, vcc, 0, v217, vcc
	ds_write_b64 v196, v[16:17] offset:22680
	global_load_dwordx2 v[16:17], v[14:15], off
	global_load_dwordx2 v[22:23], v[2:3], off offset:1344
	v_mad_u64_u32 v[14:15], s[10:11], s8, v20, v[14:15]
	v_accvgpr_write_b32 a33, v19
	s_movk_i32 s10, 0x7000
	v_accvgpr_write_b32 a32, v18
	v_add_co_u32_e32 v208, vcc, s10, v216
	v_add_u32_e32 v15, s2, v15
	s_nop 0
	v_addc_co_u32_e32 v209, vcc, 0, v217, vcc
	global_load_dwordx2 v[20:21], v[208:209], off offset:488
	s_mov_b64 s[10:11], 0x87
	v_lshl_add_u64 v[82:83], v[80:81], 0, s[10:11]
	v_cmp_gt_u16_e32 vcc, 15, v80
	s_waitcnt vmcnt(1)
	v_mul_f32_e32 v18, v17, v23
	v_fmac_f32_e32 v18, v16, v22
	v_mul_f32_e32 v16, v16, v23
	v_fma_f32 v19, v17, v22, -v16
	global_load_dwordx2 v[16:17], v[14:15], off
	ds_write_b64 v196, v[18:19] offset:25920
	v_accvgpr_write_b32 a20, v22
	v_accvgpr_write_b32 a21, v23
	s_waitcnt vmcnt(1)
	v_accvgpr_write_b32 a14, v20
	v_accvgpr_write_b32 a15, v21
	s_waitcnt vmcnt(0)
	v_mul_f32_e32 v18, v17, v21
	v_fmac_f32_e32 v18, v16, v20
	v_mul_f32_e32 v16, v16, v21
	v_fma_f32 v19, v17, v20, -v16
	v_mov_b32_e32 v16, 0xffff9250
	v_mad_u64_u32 v[14:15], s[10:11], s8, v16, v[14:15]
	ds_write_b64 v196, v[18:19] offset:29160
	v_add_u32_e32 v15, s9, v15
	global_load_dwordx2 v[16:17], v[14:15], off
	global_load_dwordx2 v[20:21], v196, s[4:5] offset:1080
	s_mov_b64 s[10:11], 0x21c
	v_lshl_add_u64 v[172:173], v[80:81], 0, s[10:11]
	s_waitcnt vmcnt(0)
	v_mul_f32_e32 v18, v17, v21
	v_fmac_f32_e32 v18, v16, v20
	v_mul_f32_e32 v16, v16, v21
	v_fma_f32 v19, v17, v20, -v16
	v_mov_b32_e32 v16, 0xca8
	ds_write2_b64 v196, v[0:1], v[18:19] offset1:135
	v_mad_u64_u32 v[0:1], s[10:11], s8, v16, v[14:15]
	v_add_u32_e32 v1, s2, v1
	global_load_dwordx2 v[14:15], v[0:1], off
	global_load_dwordx2 v[18:19], v[12:13], off offset:224
	s_mov_b64 s[10:11], 0x3b1
	v_lshl_add_u64 v[174:175], v[80:81], 0, s[10:11]
	v_mad_u64_u32 v[0:1], s[10:11], s8, v16, v[0:1]
	v_add_u32_e32 v1, s2, v1
	v_accvgpr_write_b32 a43, v21
	v_accvgpr_write_b32 a42, v20
	s_waitcnt vmcnt(0)
	v_mul_f32_e32 v28, v15, v19
	v_fmac_f32_e32 v28, v14, v18
	v_mul_f32_e32 v14, v14, v19
	v_accvgpr_write_b32 a41, v19
	v_fma_f32 v29, v15, v18, -v14
	v_accvgpr_write_b32 a40, v18
	global_load_dwordx2 v[14:15], v[0:1], off
	global_load_dwordx2 v[18:19], v[12:13], off offset:3464
	v_mad_u64_u32 v[0:1], s[10:11], s8, v16, v[0:1]
	v_add_u32_e32 v1, s2, v1
	s_waitcnt vmcnt(0)
	v_mul_f32_e32 v26, v15, v19
	v_fmac_f32_e32 v26, v14, v18
	v_mul_f32_e32 v14, v14, v19
	v_accvgpr_write_b32 a39, v19
	v_fma_f32 v27, v15, v18, -v14
	v_accvgpr_write_b32 a38, v18
	global_load_dwordx2 v[14:15], v[0:1], off
	global_load_dwordx2 v[18:19], v[8:9], off offset:2608
	v_mad_u64_u32 v[0:1], s[10:11], s8, v16, v[0:1]
	v_add_u32_e32 v1, s2, v1
	;; [unrolled: 11-line block ×4, first 2 shown]
	s_waitcnt vmcnt(0)
	v_mul_f32_e32 v20, v15, v19
	v_fmac_f32_e32 v20, v14, v18
	v_mul_f32_e32 v14, v14, v19
	v_fma_f32 v21, v15, v18, -v14
	global_load_dwordx2 v[14:15], v[0:1], off
	global_load_dwordx2 v[16:17], v[10:11], off offset:40
	v_accvgpr_write_b32 a12, v18
	v_accvgpr_write_b32 a13, v19
	v_mad_u64_u32 v[0:1], s[10:11], s8, v36, v[0:1]
	v_add_u32_e32 v1, s2, v1
	s_waitcnt vmcnt(0)
	v_mul_f32_e32 v18, v15, v17
	v_fmac_f32_e32 v18, v14, v16
	v_mul_f32_e32 v14, v14, v17
	v_fma_f32 v19, v15, v16, -v14
	global_load_dwordx2 v[14:15], v[0:1], off
	global_load_dwordx2 v[30:31], v[10:11], off offset:3280
	v_accvgpr_write_b32 a8, v16
	v_accvgpr_write_b32 a9, v17
	v_mad_u64_u32 v[0:1], s[10:11], s8, v36, v[0:1]
	v_add_u32_e32 v1, s2, v1
	s_waitcnt vmcnt(0)
	v_mul_f32_e32 v16, v15, v31
	v_fmac_f32_e32 v16, v14, v30
	v_mul_f32_e32 v14, v14, v31
	v_accvgpr_write_b32 a4, v30
	v_fma_f32 v17, v15, v30, -v14
	v_accvgpr_write_b32 a5, v31
	global_load_dwordx2 v[30:31], v[0:1], off
	global_load_dwordx2 v[32:33], v[2:3], off offset:2424
	s_waitcnt vmcnt(0)
	v_mul_f32_e32 v14, v31, v33
	v_mul_f32_e32 v15, v30, v33
	v_fmac_f32_e32 v14, v30, v32
	v_fma_f32 v15, v31, v32, -v15
	v_mad_u64_u32 v[30:31], s[10:11], s8, v36, v[0:1]
	v_accvgpr_write_b32 a2, v32
	v_add_u32_e32 v31, s2, v31
	v_accvgpr_write_b32 a3, v33
	global_load_dwordx2 v[32:33], v[30:31], off
	global_load_dwordx2 v[38:39], v[208:209], off offset:1568
	s_mov_b64 s[10:11], 0x10e
	v_lshl_add_u64 v[134:135], v[80:81], 0, s[10:11]
	v_mad_u64_u32 v[30:31], s[10:11], s8, v34, v[30:31]
	v_add_u32_e32 v31, s9, v31
	v_add_u32_e32 v135, 0x5000, v196
	s_mov_b32 s10, 0xbf167918
	s_waitcnt vmcnt(0)
	v_mul_f32_e32 v0, v33, v39
	v_mul_f32_e32 v1, v32, v39
	v_accvgpr_write_b32 a0, v38
	v_fmac_f32_e32 v0, v32, v38
	v_fma_f32 v1, v33, v38, -v1
	v_accvgpr_write_b32 a1, v39
	global_load_dwordx2 v[32:33], v[30:31], off
	global_load_dwordx2 v[38:39], v196, s[4:5] offset:2160
	s_mov_b64 s[4:5], 0x2a3
	v_lshl_add_u64 v[178:179], v[80:81], 0, s[4:5]
	v_mad_u64_u32 v[30:31], s[4:5], s8, v36, v[30:31]
	v_add_u32_e32 v31, s2, v31
	s_mov_b64 s[4:5], 0x438
	v_lshl_add_u64 v[210:211], v[80:81], 0, s[4:5]
	s_waitcnt vmcnt(0)
	v_mul_f32_e32 v34, v33, v39
	v_fmac_f32_e32 v34, v32, v38
	v_mul_f32_e32 v32, v32, v39
	v_fma_f32 v35, v33, v38, -v32
	ds_write_b64 v196, v[34:35] offset:2160
	global_load_dwordx2 v[32:33], v[30:31], off
	global_load_dwordx2 v[34:35], v[12:13], off offset:1304
	v_accvgpr_write_b32 a45, v39
	v_accvgpr_write_b32 a44, v38
	s_waitcnt vmcnt(0)
	v_mul_f32_e32 v12, v33, v35
	v_mul_f32_e32 v13, v32, v35
	v_fmac_f32_e32 v12, v32, v34
	v_fma_f32 v13, v33, v34, -v13
	v_add_u32_e32 v32, 0x1000, v196
	ds_write2_b64 v32, v[28:29], v[12:13] offset0:28 offset1:163
	v_mov_b32_e32 v176, v32
	v_mov_b32_e32 v32, 0xca8
	v_mad_u64_u32 v[12:13], s[4:5], s8, v32, v[30:31]
	v_accvgpr_write_b32 a49, v35
	v_add_u32_e32 v13, s2, v13
	v_accvgpr_write_b32 a48, v34
	global_load_dwordx2 v[28:29], v[12:13], off
	global_load_dwordx2 v[34:35], v[8:9], off offset:448
	v_mad_u64_u32 v[12:13], s[4:5], s8, v32, v[12:13]
	v_add_u32_e32 v13, s2, v13
	s_waitcnt vmcnt(0)
	v_mul_f32_e32 v30, v29, v35
	v_fmac_f32_e32 v30, v28, v34
	v_mul_f32_e32 v28, v28, v35
	v_fma_f32 v31, v29, v34, -v28
	ds_write2_b64 v127, v[26:27], v[30:31] offset0:49 offset1:184
	global_load_dwordx2 v[26:27], v[12:13], off
	global_load_dwordx2 v[28:29], v[8:9], off offset:3688
	v_accvgpr_write_b32 a47, v35
	v_accvgpr_write_b32 a46, v34
	s_waitcnt vmcnt(0)
	v_mul_f32_e32 v8, v27, v29
	v_mul_f32_e32 v9, v26, v29
	v_fmac_f32_e32 v8, v26, v28
	v_fma_f32 v9, v27, v28, -v9
	v_add_u32_e32 v26, 0x2800, v196
	ds_write2_b64 v26, v[24:25], v[8:9] offset0:70 offset1:205
	v_mov_b32_e32 v254, v26
	v_mov_b32_e32 v26, 0xca8
	v_mad_u64_u32 v[8:9], s[4:5], s8, v26, v[12:13]
	v_add_u32_e32 v9, s2, v9
	global_load_dwordx2 v[12:13], v[8:9], off
	global_load_dwordx2 v[24:25], v[6:7], off offset:2832
	v_accvgpr_write_b32 a51, v29
	v_accvgpr_write_b32 a50, v28
	s_waitcnt vmcnt(0)
	v_mul_f32_e32 v6, v13, v25
	v_mul_f32_e32 v7, v12, v25
	v_fmac_f32_e32 v6, v12, v24
	v_fma_f32 v7, v13, v24, -v7
	v_add_u32_e32 v12, 0x3400, v196
	ds_write2_b64 v12, v[22:23], v[6:7] offset0:91 offset1:226
	v_mad_u64_u32 v[6:7], s[4:5], s8, v26, v[8:9]
	v_add_u32_e32 v7, s2, v7
	v_mov_b32_e32 v142, v12
	global_load_dwordx2 v[8:9], v[6:7], off
	global_load_dwordx2 v[12:13], v[4:5], off offset:1976
	v_mov_b32_e32 v22, 0xca8
	v_accvgpr_write_b32 a53, v25
	v_accvgpr_write_b32 a52, v24
	s_waitcnt vmcnt(0)
	v_mul_f32_e32 v4, v9, v13
	v_mul_f32_e32 v5, v8, v13
	v_fmac_f32_e32 v4, v8, v12
	v_fma_f32 v5, v9, v12, -v5
	v_add_u32_e32 v8, 0x4000, v196
	ds_write2_b64 v8, v[20:21], v[4:5] offset0:112 offset1:247
	v_mad_u64_u32 v[4:5], s[4:5], s8, v22, v[6:7]
	v_accvgpr_write_b32 a57, v13
	v_add_u32_e32 v5, s2, v5
	v_accvgpr_write_b32 a56, v12
	global_load_dwordx2 v[6:7], v[4:5], off
	global_load_dwordx2 v[12:13], v[10:11], off offset:1120
	v_mov_b32_e32 v255, v8
	v_mad_u64_u32 v[4:5], s[4:5], s8, v22, v[4:5]
	v_add_u32_e32 v5, s2, v5
	v_add_u32_e32 v20, 0x6c00, v196
	v_mov_b32_e32 v143, v20
	s_waitcnt vmcnt(0)
	v_mul_f32_e32 v8, v7, v13
	v_fmac_f32_e32 v8, v6, v12
	v_mul_f32_e32 v6, v6, v13
	v_fma_f32 v9, v7, v12, -v6
	ds_write2_b64 v135, v[18:19], v[8:9] offset0:5 offset1:140
	global_load_dwordx2 v[6:7], v[4:5], off
	global_load_dwordx2 v[10:11], v[2:3], off offset:264
	v_mad_u64_u32 v[4:5], s[4:5], s8, v22, v[4:5]
	v_add_u32_e32 v5, s2, v5
	v_accvgpr_write_b32 a55, v13
	v_accvgpr_write_b32 a54, v12
	v_add_u32_e32 v12, 0x3800, v196
	v_mov_b32_e32 v211, v12
	s_waitcnt vmcnt(0)
	v_mul_f32_e32 v8, v7, v11
	v_fmac_f32_e32 v8, v6, v10
	v_mul_f32_e32 v6, v6, v11
	v_fma_f32 v9, v7, v10, -v6
	v_add_u32_e32 v6, 0x5c00, v196
	ds_write2_b64 v6, v[16:17], v[8:9] offset0:26 offset1:161
	v_mov_b32_e32 v240, v6
	global_load_dwordx2 v[6:7], v[4:5], off
	global_load_dwordx2 v[8:9], v[2:3], off offset:3504
	v_accvgpr_write_b32 a59, v11
	v_accvgpr_write_b32 a58, v10
	v_add_u32_e32 v16, 0x5400, v196
	v_mov_b32_e32 v169, v16
	s_waitcnt vmcnt(0)
	v_mul_f32_e32 v2, v7, v9
	v_mul_f32_e32 v3, v6, v9
	v_fmac_f32_e32 v2, v6, v8
	v_fma_f32 v3, v7, v8, -v3
	ds_write2_b64 v244, v[14:15], v[2:3] offset0:47 offset1:182
	v_mad_u64_u32 v[2:3], s[4:5], s8, v22, v[4:5]
	v_add_u32_e32 v3, s2, v3
	global_load_dwordx2 v[4:5], v[2:3], off
	global_load_dwordx2 v[6:7], v[208:209], off offset:2648
	v_accvgpr_write_b32 a61, v9
	v_accvgpr_write_b32 a60, v8
	v_add_u32_e32 v8, 0x2000, v196
	v_mov_b32_e32 v173, v8
	s_mov_b32 s4, 0x3f737871
	s_mov_b32 s8, 0x3f167918
	;; [unrolled: 1-line block ×6, first 2 shown]
	s_waitcnt vmcnt(0)
	v_mul_f32_e32 v2, v5, v7
	v_mul_f32_e32 v3, v4, v7
	v_fmac_f32_e32 v2, v4, v6
	v_fma_f32 v3, v5, v6, -v3
	v_add_u32_e32 v4, 0x7400, v196
	ds_write2_b64 v4, v[0:1], v[2:3] offset0:68 offset1:203
	v_mov_b32_e32 v177, v4
	v_add_u32_e32 v4, 0x800, v196
	v_accvgpr_write_b32 a63, v7
	s_waitcnt lgkmcnt(0)
	s_barrier
	ds_read2_b64 v[0:3], v4 offset0:14 offset1:149
	v_mov_b32_e32 v179, v4
	v_add_u32_e32 v4, 0x1800, v196
	v_accvgpr_write_b32 a62, v6
	ds_read2_b64 v[26:29], v4 offset0:42 offset1:177
	v_mov_b32_e32 v175, v4
	ds_read2_b64 v[4:7], v8 offset0:56 offset1:191
	v_add_u32_e32 v8, 0x3000, v196
	ds_read2_b64 v[30:33], v8 offset0:84 offset1:219
	v_mov_b32_e32 v241, v8
	ds_read2_b64 v[8:11], v12 offset0:98 offset1:233
	v_add_u32_e32 v12, 0x4a00, v196
	;; [unrolled: 4-line block ×3, first 2 shown]
	ds_read2_b64 v[22:25], v196 offset1:135
	ds_read2_b64 v[38:41], v16 offset0:40 offset1:175
	v_mov_b32_e32 v245, v16
	ds_read2_b64 v[16:19], v20 offset0:54 offset1:189
	s_waitcnt lgkmcnt(4)
	v_pk_add_f32 v[20:21], v[30:31], v[34:35]
	v_pk_add_f32 v[44:45], v[30:31], v[34:35] neg_lo:[0,1] neg_hi:[0,1]
	s_waitcnt lgkmcnt(2)
	v_fma_f32 v54, -0.5, v20, v22
	s_waitcnt lgkmcnt(1)
	v_pk_add_f32 v[42:43], v[26:27], v[38:39] neg_lo:[0,1] neg_hi:[0,1]
	v_fma_f32 v60, -0.5, v21, v23
	v_fmamk_f32 v55, v43, 0x3f737871, v54
	v_pk_add_f32 v[46:47], v[26:27], v[30:31] neg_lo:[0,1] neg_hi:[0,1]
	v_pk_add_f32 v[48:49], v[38:39], v[34:35] neg_lo:[0,1] neg_hi:[0,1]
	v_fmac_f32_e32 v54, 0xbf737871, v43
	v_fmamk_f32 v61, v42, 0xbf737871, v60
	v_fmac_f32_e32 v60, 0x3f737871, v42
	v_fmac_f32_e32 v55, 0x3f167918, v45
	v_pk_add_f32 v[46:47], v[46:47], v[48:49]
	v_fmac_f32_e32 v54, 0xbf167918, v45
	v_pk_add_f32 v[48:49], v[26:27], v[38:39]
	v_fmac_f32_e32 v61, 0xbf167918, v44
	v_fmac_f32_e32 v60, 0x3f167918, v44
	;; [unrolled: 1-line block ×4, first 2 shown]
	v_fma_f32 v58, -0.5, v48, v22
	v_fmac_f32_e32 v61, 0x3e9e377a, v47
	v_fmac_f32_e32 v60, 0x3e9e377a, v47
	v_fma_f32 v62, -0.5, v49, v23
	v_pk_add_f32 v[46:47], v[6:7], v[10:11] neg_lo:[0,1] neg_hi:[0,1]
	s_waitcnt lgkmcnt(0)
	v_pk_add_f32 v[48:49], v[18:19], v[14:15] neg_lo:[0,1] neg_hi:[0,1]
	v_fmamk_f32 v59, v45, 0xbf737871, v58
	v_pk_add_f32 v[46:47], v[46:47], v[48:49]
	v_pk_add_f32 v[48:49], v[6:7], v[18:19]
	v_fmac_f32_e32 v58, 0x3f737871, v45
	v_fmamk_f32 v63, v44, 0x3f737871, v62
	v_fmac_f32_e32 v62, 0xbf737871, v44
	v_pk_add_f32 v[20:21], v[10:11], v[14:15]
	v_pk_add_f32 v[44:45], v[10:11], v[14:15] neg_lo:[0,1] neg_hi:[0,1]
	v_fma_f32 v48, -0.5, v48, v2
	v_fmac_f32_e32 v59, 0x3f167918, v43
	v_fmac_f32_e32 v58, 0xbf167918, v43
	;; [unrolled: 1-line block ×4, first 2 shown]
	v_fma_f32 v20, -0.5, v20, v2
	v_pk_add_f32 v[42:43], v[6:7], v[18:19] neg_lo:[0,1] neg_hi:[0,1]
	v_fmamk_f32 v64, v45, 0xbf737871, v48
	v_fmac_f32_e32 v48, 0x3f737871, v45
	v_fma_f32 v21, -0.5, v21, v3
	v_fmamk_f32 v57, v43, 0x3f737871, v20
	v_fmac_f32_e32 v20, 0xbf737871, v43
	v_fmac_f32_e32 v64, 0x3f167918, v43
	;; [unrolled: 1-line block ×3, first 2 shown]
	v_fmamk_f32 v43, v42, 0xbf737871, v21
	v_fmac_f32_e32 v21, 0x3f737871, v42
	v_pk_add_f32 v[50:51], v[30:31], v[26:27] neg_lo:[0,1] neg_hi:[0,1]
	v_pk_add_f32 v[52:53], v[34:35], v[38:39] neg_lo:[0,1] neg_hi:[0,1]
	v_fmac_f32_e32 v43, 0xbf167918, v44
	v_fmac_f32_e32 v21, 0x3f167918, v44
	v_pk_add_f32 v[50:51], v[50:51], v[52:53]
	v_fmac_f32_e32 v43, 0x3e9e377a, v47
	v_fmac_f32_e32 v21, 0x3e9e377a, v47
	v_fma_f32 v47, -0.5, v49, v3
	v_fmac_f32_e32 v59, 0x3e9e377a, v50
	v_fmac_f32_e32 v58, 0x3e9e377a, v50
	;; [unrolled: 1-line block ×6, first 2 shown]
	v_pk_add_f32 v[50:51], v[10:11], v[6:7] neg_lo:[0,1] neg_hi:[0,1]
	v_pk_add_f32 v[52:53], v[14:15], v[18:19] neg_lo:[0,1] neg_hi:[0,1]
	v_fmamk_f32 v45, v44, 0x3f737871, v47
	v_pk_add_f32 v[50:51], v[50:51], v[52:53]
	v_fmac_f32_e32 v45, 0xbf167918, v42
	v_fmac_f32_e32 v47, 0xbf737871, v44
	;; [unrolled: 1-line block ×9, first 2 shown]
	v_mul_f32_e32 v50, 0x3f737871, v45
	v_mul_f32_e32 v52, 0xbf4f1bbd, v20
	;; [unrolled: 1-line block ×3, first 2 shown]
	v_fmac_f32_e32 v50, 0x3e9e377a, v64
	v_mul_f32_e32 v51, 0xbe9e377a, v48
	v_fmac_f32_e32 v52, 0x3f167918, v21
	v_mul_f32_e32 v53, 0xbf167918, v57
	v_mul_f32_e32 v64, 0xbf737871, v64
	;; [unrolled: 1-line block ×4, first 2 shown]
	v_fmac_f32_e32 v49, 0x3f167918, v43
	v_fmac_f32_e32 v51, 0x3f737871, v47
	;; [unrolled: 1-line block ×6, first 2 shown]
	v_add_f32_e32 v42, v55, v49
	v_add_f32_e32 v44, v59, v50
	;; [unrolled: 1-line block ×8, first 2 shown]
	v_sub_f32_e32 v66, v55, v49
	v_sub_f32_e32 v68, v59, v50
	;; [unrolled: 1-line block ×8, first 2 shown]
	v_mul_lo_u16_e32 v20, 10, v80
	ds_read2_b64 v[74:77], v176 offset0:28 offset1:163
	ds_read2_b64 v[58:61], v254 offset0:70 offset1:205
	;; [unrolled: 1-line block ×5, first 2 shown]
	v_pk_add_f32 v[84:85], v[32:33], v[36:37]
	v_pk_add_f32 v[90:91], v[28:29], v[40:41] neg_lo:[0,1] neg_hi:[0,1]
	v_lshlrev_b32_e32 v126, 3, v20
	v_mul_u32_u24_e32 v20, 10, v82
	v_pk_fma_f32 v[84:85], v[84:85], 0.5, v[24:25] op_sel_hi:[1,0,1] neg_lo:[1,0,0] neg_hi:[1,0,0]
	v_pk_mul_f32 v[92:93], v[90:91], s[4:5] op_sel_hi:[1,0]
	v_pk_add_f32 v[94:95], v[32:33], v[36:37] neg_lo:[0,1] neg_hi:[0,1]
	v_pk_add_f32 v[98:99], v[28:29], v[32:33] neg_lo:[0,1] neg_hi:[0,1]
	;; [unrolled: 1-line block ×3, first 2 shown]
	v_lshlrev_b32_e32 v87, 3, v20
	v_pk_add_f32 v[20:21], v[24:25], v[28:29]
	v_pk_mul_f32 v[96:97], v[94:95], s[8:9] op_sel_hi:[1,0]
	v_pk_add_f32 v[98:99], v[98:99], v[100:101]
	v_pk_add_f32 v[100:101], v[84:85], v[92:93] op_sel:[0,1] op_sel_hi:[1,0]
	v_pk_add_f32 v[84:85], v[84:85], v[92:93] op_sel:[0,1] op_sel_hi:[1,0] neg_lo:[0,1] neg_hi:[0,1]
	v_pk_add_f32 v[20:21], v[20:21], v[32:33]
	v_pk_add_f32 v[84:85], v[84:85], v[96:97] op_sel:[0,1] op_sel_hi:[1,0] neg_lo:[0,1] neg_hi:[0,1]
	v_pk_add_f32 v[96:97], v[100:101], v[96:97] op_sel:[0,1] op_sel_hi:[1,0]
	v_pk_add_f32 v[20:21], v[20:21], v[36:37]
	v_mov_b32_e32 v92, v96
	v_mov_b32_e32 v93, v85
	v_pk_add_f32 v[20:21], v[20:21], v[40:41]
	v_pk_fma_f32 v[100:101], v[98:99], s[2:3], v[92:93] op_sel_hi:[1,0,1]
	v_pk_add_f32 v[92:93], v[28:29], v[40:41]
	v_pk_add_f32 v[28:29], v[32:33], v[28:29] neg_lo:[0,1] neg_hi:[0,1]
	v_pk_add_f32 v[32:33], v[36:37], v[40:41] neg_lo:[0,1] neg_hi:[0,1]
	s_waitcnt lgkmcnt(1)
	v_pk_add_f32 v[36:37], v[62:63], v[48:49] neg_lo:[0,1] neg_hi:[0,1]
	s_waitcnt lgkmcnt(0)
	v_pk_add_f32 v[40:41], v[58:59], v[52:53]
	v_pk_fma_f32 v[24:25], v[92:93], 0.5, v[24:25] op_sel_hi:[1,0,1] neg_lo:[1,0,0] neg_hi:[1,0,0]
	v_pk_add_f32 v[28:29], v[28:29], v[32:33]
	v_pk_add_f32 v[32:33], v[58:59], v[52:53] neg_lo:[0,1] neg_hi:[0,1]
	v_pk_fma_f32 v[40:41], v[40:41], 0.5, v[74:75] op_sel_hi:[1,0,1] neg_lo:[1,0,0] neg_hi:[1,0,0]
	v_pk_mul_f32 v[92:93], v[36:37], s[4:5] op_sel_hi:[1,0]
	v_pk_add_f32 v[104:105], v[62:63], v[58:59] neg_lo:[0,1] neg_hi:[0,1]
	v_pk_add_f32 v[106:107], v[48:49], v[52:53] neg_lo:[0,1] neg_hi:[0,1]
	v_pk_mul_f32 v[102:103], v[32:33], s[8:9] op_sel_hi:[1,0]
	v_pk_add_f32 v[104:105], v[104:105], v[106:107]
	v_pk_add_f32 v[106:107], v[40:41], v[92:93] op_sel:[0,1] op_sel_hi:[1,0] neg_lo:[0,1] neg_hi:[0,1]
	v_pk_add_f32 v[40:41], v[40:41], v[92:93] op_sel:[0,1] op_sel_hi:[1,0]
	v_pk_mul_f32 v[90:91], v[90:91], s[8:9] op_sel_hi:[1,0]
	v_pk_add_f32 v[40:41], v[40:41], v[102:103] op_sel:[0,1] op_sel_hi:[1,0] neg_lo:[0,1] neg_hi:[0,1]
	v_pk_add_f32 v[102:103], v[106:107], v[102:103] op_sel:[0,1] op_sel_hi:[1,0]
	v_mov_b32_e32 v93, v41
	v_mov_b32_e32 v92, v102
	v_pk_fma_f32 v[92:93], v[104:105], s[2:3], v[92:93] op_sel_hi:[1,0,1]
	v_pk_add_f32 v[78:79], v[74:75], v[58:59]
	v_pk_mul_f32 v[106:107], v[92:93], s[4:5] op_sel_hi:[1,0]
	v_pk_add_f32 v[78:79], v[78:79], v[62:63]
	v_pk_fma_f32 v[108:109], v[92:93], s[2:3], v[106:107] op_sel:[0,0,1] op_sel_hi:[1,0,0]
	v_pk_fma_f32 v[92:93], v[92:93], s[2:3], v[106:107] op_sel:[0,0,1] op_sel_hi:[1,0,0] neg_lo:[0,0,1] neg_hi:[0,0,1]
	v_pk_add_f32 v[78:79], v[78:79], v[48:49]
	v_mov_b32_e32 v109, v93
	v_pk_mul_f32 v[92:93], v[94:95], s[4:5] op_sel_hi:[1,0]
	v_pk_add_f32 v[58:59], v[58:59], v[62:63] neg_lo:[0,1] neg_hi:[0,1]
	v_pk_add_f32 v[94:95], v[24:25], v[92:93] op_sel:[0,1] op_sel_hi:[1,0] neg_lo:[0,1] neg_hi:[0,1]
	v_pk_add_f32 v[24:25], v[24:25], v[92:93] op_sel:[0,1] op_sel_hi:[1,0]
	v_pk_mul_f32 v[32:33], v[32:33], s[4:5] op_sel_hi:[1,0]
	v_pk_add_f32 v[24:25], v[24:25], v[90:91] op_sel:[0,1] op_sel_hi:[1,0] neg_lo:[0,1] neg_hi:[0,1]
	v_pk_add_f32 v[90:91], v[94:95], v[90:91] op_sel:[0,1] op_sel_hi:[1,0]
	v_mov_b32_e32 v93, v25
	v_mov_b32_e32 v92, v90
	;; [unrolled: 1-line block ×3, first 2 shown]
	v_pk_fma_f32 v[106:107], v[28:29], s[2:3], v[92:93] op_sel_hi:[1,0,1]
	v_pk_fma_f32 v[24:25], v[28:29], s[2:3], v[24:25] op_sel_hi:[1,0,1]
	v_pk_add_f32 v[28:29], v[62:63], v[48:49]
	v_pk_add_f32 v[48:49], v[52:53], v[48:49] neg_lo:[0,1] neg_hi:[0,1]
	v_pk_fma_f32 v[28:29], v[28:29], 0.5, v[74:75] op_sel_hi:[1,0,1] neg_lo:[1,0,0] neg_hi:[1,0,0]
	v_pk_add_f32 v[48:49], v[58:59], v[48:49]
	v_pk_add_f32 v[58:59], v[28:29], v[32:33] op_sel:[0,1] op_sel_hi:[1,0]
	v_pk_mul_f32 v[36:37], v[36:37], s[8:9] op_sel_hi:[1,0]
	v_pk_add_f32 v[28:29], v[28:29], v[32:33] op_sel:[0,1] op_sel_hi:[1,0] neg_lo:[0,1] neg_hi:[0,1]
	v_pk_add_f32 v[58:59], v[36:37], v[58:59] op_sel:[1,0] op_sel_hi:[0,1]
	v_pk_add_f32 v[28:29], v[28:29], v[36:37] op_sel:[0,1] op_sel_hi:[1,0] neg_lo:[0,1] neg_hi:[0,1]
	v_mov_b32_e32 v41, v103
	v_pk_fma_f32 v[32:33], v[48:49], s[2:3], v[28:29] op_sel_hi:[1,0,1]
	v_mov_b32_e32 v29, v59
	v_pk_add_f32 v[22:23], v[22:23], v[26:27]
	v_pk_add_f32 v[2:3], v[2:3], v[6:7]
	v_pk_fma_f32 v[40:41], v[104:105], s[2:3], v[40:41] op_sel_hi:[1,0,1]
	v_pk_fma_f32 v[28:29], v[48:49], s[2:3], v[28:29] op_sel_hi:[1,0,1]
	v_pk_add_f32 v[22:23], v[22:23], v[30:31]
	v_pk_add_f32 v[2:3], v[2:3], v[10:11]
	v_pk_mul_f32 v[94:95], v[40:41], s[2:3] op_sel_hi:[1,0]
	v_pk_fma_f32 v[62:63], v[48:49], s[2:3], v[58:59] op_sel_hi:[1,0,1]
	v_pk_mul_f32 v[36:37], v[28:29], s[16:17] op_sel_hi:[1,0]
	s_mov_b32 s17, s8
	v_pk_add_f32 v[22:23], v[22:23], v[34:35]
	v_pk_add_f32 v[2:3], v[2:3], v[14:15]
	v_pk_fma_f32 v[40:41], v[40:41], s[18:19], v[94:95] op_sel:[0,0,1] op_sel_hi:[1,1,0] neg_lo:[0,0,1] neg_hi:[0,0,1]
	v_pk_fma_f32 v[28:29], v[28:29], s[10:11], v[36:37] op_sel:[0,0,1] op_sel_hi:[1,1,0] neg_lo:[0,0,1] neg_hi:[0,0,1]
	v_pk_mul_f32 v[36:37], v[62:63], s[16:17] op_sel_hi:[0,1]
	s_mov_b32 s9, s16
	v_pk_add_f32 v[22:23], v[22:23], v[38:39]
	v_pk_add_f32 v[2:3], v[2:3], v[18:19]
	;; [unrolled: 1-line block ×3, first 2 shown]
	v_pk_add_f32 v[94:95], v[24:25], v[40:41] op_sel:[0,1] op_sel_hi:[1,0]
	v_mov_b32_e32 v85, v97
	v_pk_fma_f32 v[48:49], v[32:33], s[8:9], v[36:37] op_sel:[1,0,0]
	v_pk_fma_f32 v[32:33], v[32:33], s[8:9], v[36:37] op_sel:[1,0,0] neg_lo:[0,0,1] neg_hi:[0,0,1]
	v_pk_add_f32 v[36:37], v[24:25], v[40:41] op_sel:[0,1] op_sel_hi:[1,0] neg_lo:[0,1] neg_hi:[0,1]
	v_pk_add_f32 v[40:41], v[22:23], v[2:3]
	v_pk_add_f32 v[58:59], v[22:23], v[2:3] neg_lo:[0,1] neg_hi:[0,1]
	v_pk_add_f32 v[2:3], v[8:9], v[12:13]
	v_pk_add_f32 v[22:23], v[4:5], v[16:17] neg_lo:[0,1] neg_hi:[0,1]
	v_pk_add_f32 v[88:89], v[20:21], v[78:79]
	v_pk_fma_f32 v[52:53], v[98:99], s[2:3], v[84:85] op_sel_hi:[1,0,1]
	v_mov_b32_e32 v49, v33
	v_pk_add_f32 v[32:33], v[20:21], v[78:79] neg_lo:[0,1] neg_hi:[0,1]
	v_mul_u32_u24_e32 v20, 10, v134
	v_pk_fma_f32 v[2:3], v[2:3], 0.5, v[0:1] op_sel_hi:[1,0,1] neg_lo:[1,0,0] neg_hi:[1,0,0]
	v_pk_mul_f32 v[10:11], v[22:23], s[4:5] op_sel_hi:[1,0]
	v_pk_add_f32 v[26:27], v[8:9], v[12:13] neg_lo:[0,1] neg_hi:[0,1]
	v_pk_add_f32 v[6:7], v[4:5], v[8:9] neg_lo:[0,1] neg_hi:[0,1]
	;; [unrolled: 1-line block ×3, first 2 shown]
	v_pk_add_f32 v[62:63], v[52:53], v[28:29] op_sel:[1,0] op_sel_hi:[0,1]
	v_lshlrev_b32_e32 v86, 3, v20
	v_pk_add_f32 v[20:21], v[0:1], v[4:5]
	v_pk_mul_f32 v[14:15], v[26:27], s[8:9] op_sel_hi:[1,0]
	v_pk_add_f32 v[6:7], v[6:7], v[18:19]
	v_pk_add_f32 v[18:19], v[2:3], v[10:11] op_sel:[0,1] op_sel_hi:[1,0]
	v_pk_add_f32 v[2:3], v[2:3], v[10:11] op_sel:[0,1] op_sel_hi:[1,0] neg_lo:[0,1] neg_hi:[0,1]
	v_pk_add_f32 v[20:21], v[20:21], v[8:9]
	v_mov_b32_e32 v30, v63
	v_mov_b32_e32 v31, v62
	v_pk_add_f32 v[10:11], v[2:3], v[14:15] op_sel:[0,1] op_sel_hi:[1,0] neg_lo:[0,1] neg_hi:[0,1]
	v_pk_add_f32 v[14:15], v[18:19], v[14:15] op_sel:[0,1] op_sel_hi:[1,0]
	v_pk_add_f32 v[18:19], v[4:5], v[16:17]
	v_pk_add_f32 v[92:93], v[106:107], v[108:109]
	;; [unrolled: 1-line block ×3, first 2 shown]
	v_pk_add_f32 v[96:97], v[100:101], v[48:49] neg_lo:[0,1] neg_hi:[0,1]
	v_pk_add_f32 v[98:99], v[106:107], v[108:109] neg_lo:[0,1] neg_hi:[0,1]
	v_pk_add_f32 v[20:21], v[20:21], v[12:13]
	s_barrier
	ds_write_b128 v126, v[40:43]
	ds_write_b128 v126, v[44:47] offset:16
	ds_write_b128 v126, v[56:59] offset:32
	;; [unrolled: 1-line block ×5, first 2 shown]
	ds_write_b128 v87, v[88:91]
	ds_write_b128 v87, v[30:33] offset:32
	ds_write_b128 v87, v[96:99] offset:48
	v_pk_fma_f32 v[30:31], v[18:19], 0.5, v[0:1] op_sel_hi:[1,0,1] neg_lo:[1,0,0] neg_hi:[1,0,0]
	v_pk_add_f32 v[0:1], v[8:9], v[4:5] neg_lo:[0,1] neg_hi:[0,1]
	v_pk_add_f32 v[4:5], v[12:13], v[16:17] neg_lo:[0,1] neg_hi:[0,1]
	v_pk_add_f32 v[24:25], v[20:21], v[16:17]
	v_pk_add_f32 v[8:9], v[0:1], v[4:5]
	v_pk_add_f32 v[16:17], v[64:65], v[50:51] neg_lo:[0,1] neg_hi:[0,1]
	v_pk_add_f32 v[0:1], v[60:61], v[54:55]
	v_pk_add_f32 v[18:19], v[60:61], v[54:55] neg_lo:[0,1] neg_hi:[0,1]
	v_pk_fma_f32 v[0:1], v[0:1], 0.5, v[76:77] op_sel_hi:[1,0,1] neg_lo:[1,0,0] neg_hi:[1,0,0]
	v_pk_mul_f32 v[4:5], v[16:17], s[4:5] op_sel_hi:[1,0]
	v_pk_add_f32 v[32:33], v[64:65], v[60:61] neg_lo:[0,1] neg_hi:[0,1]
	v_pk_add_f32 v[34:35], v[50:51], v[54:55] neg_lo:[0,1] neg_hi:[0,1]
	v_pk_mul_f32 v[12:13], v[18:19], s[8:9] op_sel_hi:[1,0]
	v_pk_add_f32 v[32:33], v[32:33], v[34:35]
	v_pk_add_f32 v[34:35], v[0:1], v[4:5] op_sel:[0,1] op_sel_hi:[1,0] neg_lo:[0,1] neg_hi:[0,1]
	v_pk_add_f32 v[0:1], v[0:1], v[4:5] op_sel:[0,1] op_sel_hi:[1,0]
	v_pk_add_f32 v[34:35], v[34:35], v[12:13] op_sel:[0,1] op_sel_hi:[1,0]
	v_pk_add_f32 v[4:5], v[0:1], v[12:13] op_sel:[0,1] op_sel_hi:[1,0] neg_lo:[0,1] neg_hi:[0,1]
	v_pk_add_f32 v[48:49], v[52:53], v[28:29] op_sel:[1,0] op_sel_hi:[0,1] neg_lo:[0,1] neg_hi:[0,1]
	v_mov_b32_e32 v0, v34
	v_mov_b32_e32 v1, v5
	;; [unrolled: 1-line block ×4, first 2 shown]
	v_pk_fma_f32 v[12:13], v[32:33], s[2:3], v[0:1] op_sel_hi:[1,0,1]
	ds_write_b128 v87, v[36:39] offset:64
	v_pk_mul_f32 v[36:37], v[12:13], s[4:5] op_sel_hi:[1,0]
	v_pk_mul_f32 v[22:23], v[22:23], s[8:9] op_sel_hi:[1,0]
	v_pk_fma_f32 v[0:1], v[12:13], s[2:3], v[36:37] op_sel:[0,0,1] op_sel_hi:[1,0,0]
	v_pk_fma_f32 v[12:13], v[12:13], s[2:3], v[36:37] op_sel:[0,0,1] op_sel_hi:[1,0,0] neg_lo:[0,0,1] neg_hi:[0,0,1]
	v_mov_b32_e32 v5, v35
	v_mov_b32_e32 v1, v13
	v_pk_mul_f32 v[12:13], v[26:27], s[4:5] op_sel_hi:[1,0]
	v_pk_fma_f32 v[4:5], v[32:33], s[2:3], v[4:5] op_sel_hi:[1,0,1]
	v_pk_add_f32 v[26:27], v[30:31], v[12:13] op_sel:[0,1] op_sel_hi:[1,0] neg_lo:[0,1] neg_hi:[0,1]
	v_pk_add_f32 v[12:13], v[30:31], v[12:13] op_sel:[0,1] op_sel_hi:[1,0]
	v_mov_b32_e32 v2, v14
	v_pk_add_f32 v[36:37], v[12:13], v[22:23] op_sel:[0,1] op_sel_hi:[1,0] neg_lo:[0,1] neg_hi:[0,1]
	v_pk_add_f32 v[22:23], v[26:27], v[22:23] op_sel:[0,1] op_sel_hi:[1,0]
	v_mov_b32_e32 v13, v37
	v_mov_b32_e32 v12, v22
	v_pk_mul_f32 v[26:27], v[4:5], s[2:3] op_sel_hi:[1,0]
	v_mov_b32_e32 v37, v23
	v_mov_b32_e32 v3, v11
	v_pk_fma_f32 v[12:13], v[8:9], s[2:3], v[12:13] op_sel_hi:[1,0,1]
	v_pk_fma_f32 v[4:5], v[4:5], s[18:19], v[26:27] op_sel:[0,0,1] op_sel_hi:[1,1,0] neg_lo:[0,0,1] neg_hi:[0,0,1]
	v_pk_fma_f32 v[8:9], v[8:9], s[2:3], v[36:37] op_sel_hi:[1,0,1]
	v_pk_add_f32 v[22:23], v[64:65], v[50:51]
	v_mov_b32_e32 v11, v15
	v_pk_fma_f32 v[2:3], v[6:7], s[2:3], v[2:3] op_sel_hi:[1,0,1]
	v_pk_add_f32 v[30:31], v[12:13], v[0:1]
	v_pk_add_f32 v[32:33], v[8:9], v[4:5] op_sel:[0,1] op_sel_hi:[1,0]
	v_pk_fma_f32 v[22:23], v[22:23], 0.5, v[76:77] op_sel_hi:[1,0,1] neg_lo:[1,0,0] neg_hi:[1,0,0]
	v_pk_fma_f32 v[6:7], v[6:7], s[2:3], v[10:11] op_sel_hi:[1,0,1]
	v_pk_mul_f32 v[10:11], v[18:19], s[4:5] op_sel_hi:[1,0]
	ds_write_b128 v86, v[30:33] offset:16
	v_pk_add_f32 v[26:27], v[60:61], v[64:65] neg_lo:[0,1] neg_hi:[0,1]
	v_pk_add_f32 v[30:31], v[54:55], v[50:51] neg_lo:[0,1] neg_hi:[0,1]
	v_pk_add_f32 v[14:15], v[22:23], v[10:11] op_sel:[0,1] op_sel_hi:[1,0]
	v_pk_mul_f32 v[16:17], v[16:17], s[8:9] op_sel_hi:[1,0]
	v_pk_add_f32 v[10:11], v[22:23], v[10:11] op_sel:[0,1] op_sel_hi:[1,0] neg_lo:[0,1] neg_hi:[0,1]
	v_pk_add_f32 v[26:27], v[26:27], v[30:31]
	v_pk_add_f32 v[14:15], v[16:17], v[14:15] op_sel:[1,0] op_sel_hi:[0,1]
	v_pk_add_f32 v[10:11], v[10:11], v[16:17] op_sel:[0,1] op_sel_hi:[1,0] neg_lo:[0,1] neg_hi:[0,1]
	v_pk_fma_f32 v[18:19], v[26:27], s[2:3], v[14:15] op_sel_hi:[1,0,1]
	v_pk_fma_f32 v[16:17], v[26:27], s[2:3], v[10:11] op_sel_hi:[1,0,1]
	v_mov_b32_e32 v11, v15
	v_pk_fma_f32 v[10:11], v[26:27], s[2:3], v[10:11] op_sel_hi:[1,0,1]
	v_pk_add_f32 v[12:13], v[12:13], v[0:1] neg_lo:[0,1] neg_hi:[0,1]
	v_pk_mul_f32 v[14:15], v[10:11], s[16:17] op_sel_hi:[1,0]
	v_pk_add_f32 v[0:1], v[8:9], v[4:5] op_sel:[0,1] op_sel_hi:[1,0] neg_lo:[0,1] neg_hi:[0,1]
	v_pk_fma_f32 v[26:27], v[10:11], s[10:11], v[14:15] op_sel:[0,0,1] op_sel_hi:[1,1,0] neg_lo:[0,0,1] neg_hi:[0,0,1]
	v_pk_mul_f32 v[10:11], v[18:19], s[16:17] op_sel_hi:[0,1]
	v_pk_fma_f32 v[18:19], v[16:17], s[8:9], v[10:11] op_sel:[1,0,0]
	v_pk_fma_f32 v[10:11], v[16:17], s[8:9], v[10:11] op_sel:[1,0,0] neg_lo:[0,0,1] neg_hi:[0,0,1]
	v_pk_add_f32 v[4:5], v[6:7], v[26:27] op_sel:[1,0] op_sel_hi:[0,1] neg_lo:[0,1] neg_hi:[0,1]
	v_mov_b32_e32 v19, v11
	v_pk_add_f32 v[10:11], v[6:7], v[26:27] op_sel:[1,0] op_sel_hi:[0,1]
	v_pk_add_f32 v[22:23], v[2:3], v[18:19]
	v_mov_b32_e32 v14, v11
	v_mov_b32_e32 v15, v10
	v_pk_add_f32 v[10:11], v[2:3], v[18:19] neg_lo:[0,1] neg_hi:[0,1]
	v_mov_b32_e32 v2, v5
	v_mov_b32_e32 v3, v4
	s_movk_i32 s5, 0xcd
	ds_write_b128 v86, v[0:3] offset:64
	v_mul_lo_u16_sdwa v0, v80, s5 dst_sel:DWORD dst_unused:UNUSED_PAD src0_sel:BYTE_0 src1_sel:DWORD
	v_pk_add_f32 v[20:21], v[76:77], v[60:61]
	v_lshrrev_b16_e32 v0, 11, v0
	v_pk_add_f32 v[20:21], v[20:21], v[64:65]
	v_mul_lo_u16_e32 v1, 10, v0
	v_pk_add_f32 v[20:21], v[20:21], v[50:51]
	v_sub_u16_e32 v1, v80, v1
	v_pk_add_f32 v[28:29], v[20:21], v[54:55]
	v_and_b32_e32 v1, 0xff, v1
	v_pk_add_f32 v[20:21], v[24:25], v[28:29]
	v_pk_add_f32 v[16:17], v[24:25], v[28:29] neg_lo:[0,1] neg_hi:[0,1]
	v_lshlrev_b32_e32 v2, 5, v1
	s_mov_b32 s5, 0xcccd
	ds_write_b128 v86, v[20:23]
	ds_write_b128 v86, v[14:17] offset:32
	ds_write_b128 v86, v[10:13] offset:48
	s_waitcnt lgkmcnt(0)
	s_barrier
	global_load_dwordx4 v[152:155], v2, s[6:7] offset:16
	global_load_dwordx4 v[164:167], v2, s[6:7]
	v_mul_u32_u24_sdwa v2, v82, s5 dst_sel:DWORD dst_unused:UNUSED_PAD src0_sel:WORD_0 src1_sel:DWORD
	v_lshrrev_b32_e32 v2, 19, v2
	v_mul_lo_u16_e32 v3, 10, v2
	v_sub_u16_e32 v3, v82, v3
	v_lshlrev_b16_e32 v4, 2, v3
	v_lshlrev_b32_e32 v4, 3, v4
	global_load_dwordx4 v[112:115], v4, s[6:7] offset:16
	global_load_dwordx4 v[106:109], v4, s[6:7]
	v_mul_u32_u24_sdwa v4, v134, s5 dst_sel:DWORD dst_unused:UNUSED_PAD src0_sel:WORD_0 src1_sel:DWORD
	v_lshrrev_b32_e32 v4, 19, v4
	v_mul_lo_u16_e32 v5, 10, v4
	v_sub_u16_e32 v5, v134, v5
	v_lshlrev_b16_e32 v6, 2, v5
	v_lshlrev_b32_e32 v6, 3, v6
	;; [unrolled: 8-line block ×5, first 2 shown]
	global_load_dwordx4 v[48:51], v12, s[6:7] offset:16
	global_load_dwordx4 v[56:59], v12, s[6:7]
	v_mul_u32_u24_e32 v0, 50, v0
	v_add_lshl_u32 v163, v0, v1, 3
	v_mad_legacy_u16 v0, v2, 50, v3
	v_lshlrev_b32_e32 v162, 3, v0
	v_mad_legacy_u16 v0, v4, 50, v5
	v_lshlrev_b32_e32 v161, 3, v0
	;; [unrolled: 2-line block ×5, first 2 shown]
	ds_read2_b64 v[40:43], v176 offset0:28 offset1:163
	ds_read2_b64 v[0:3], v254 offset0:70 offset1:205
	;; [unrolled: 1-line block ×5, first 2 shown]
	v_accvgpr_write_b32 a71, v163
	v_accvgpr_write_b32 a73, v162
	;; [unrolled: 1-line block ×6, first 2 shown]
	s_mov_b32 s10, 0x3f5db3d7
	s_movk_i32 s18, 0xffd3
	s_mov_b32 s19, -1
	s_waitcnt vmcnt(11)
	v_accvgpr_write_b32 a124, v152
	v_accvgpr_write_b32 a130, v155
	v_accvgpr_write_b32 a125, v153
	v_accvgpr_write_b32 a126, v154
	s_waitcnt vmcnt(10)
	v_accvgpr_write_b32 a120, v164
	v_accvgpr_write_b32 a121, v165
	v_accvgpr_write_b32 a122, v166
	v_accvgpr_write_b32 a128, v167
	;; [unrolled: 5-line block ×5, first 2 shown]
	s_waitcnt vmcnt(1)
	v_accvgpr_write_b32 a86, v51
	s_waitcnt vmcnt(0) lgkmcnt(3)
	v_pk_mul_f32 v[10:11], v[2:3], v[56:57] op_sel:[0,1]
	v_accvgpr_write_b32 a72, v59
	v_pk_fma_f32 v[8:9], v[2:3], v[56:57], v[10:11] op_sel:[0,0,1] op_sel_hi:[1,1,0] neg_lo:[0,0,1] neg_hi:[0,0,1]
	v_pk_fma_f32 v[2:3], v[2:3], v[56:57], v[10:11] op_sel:[0,0,1] op_sel_hi:[1,0,0]
	v_mov_b32_e32 v10, v59
	v_mov_b32_e32 v9, v3
	s_waitcnt lgkmcnt(2)
	v_pk_mul_f32 v[2:3], v[6:7], v[10:11] op_sel_hi:[1,0]
	s_nop 0
	v_pk_fma_f32 v[10:11], v[6:7], v[58:59], v[2:3] op_sel:[0,0,1] op_sel_hi:[1,1,0] neg_lo:[0,0,1] neg_hi:[0,0,1]
	v_pk_fma_f32 v[2:3], v[6:7], v[58:59], v[2:3] op_sel:[0,0,1] op_sel_hi:[1,0,0]
	v_mov_b32_e32 v6, v51
	v_mov_b32_e32 v11, v3
	s_waitcnt lgkmcnt(1)
	v_pk_mul_f32 v[2:3], v[36:37], v[48:49] op_sel:[0,1]
	v_lshrrev_b16_e32 v59, 1, v132
	v_pk_fma_f32 v[12:13], v[36:37], v[48:49], v[2:3] op_sel:[0,0,1] op_sel_hi:[1,1,0] neg_lo:[0,0,1] neg_hi:[0,0,1]
	v_pk_fma_f32 v[2:3], v[36:37], v[48:49], v[2:3] op_sel:[0,0,1] op_sel_hi:[1,0,0]
	v_mov_b64_e32 v[38:39], v[30:31]
	v_mov_b32_e32 v13, v3
	s_waitcnt lgkmcnt(0)
	v_pk_mul_f32 v[2:3], v[46:47], v[6:7] op_sel_hi:[1,0]
	v_pk_add_f32 v[6:7], v[8:9], v[10:11] neg_lo:[0,1] neg_hi:[0,1]
	v_pk_fma_f32 v[18:19], v[46:47], v[50:51], v[2:3] op_sel:[0,0,1] op_sel_hi:[1,1,0] neg_lo:[0,0,1] neg_hi:[0,0,1]
	v_pk_fma_f32 v[2:3], v[46:47], v[50:51], v[2:3] op_sel:[0,0,1] op_sel_hi:[1,0,0]
	v_pk_add_f32 v[20:21], v[10:11], v[12:13] neg_lo:[0,1] neg_hi:[0,1]
	v_mov_b32_e32 v19, v3
	v_pk_add_f32 v[2:3], v[10:11], v[12:13]
	v_pk_add_f32 v[16:17], v[8:9], v[18:19] neg_lo:[0,1] neg_hi:[0,1]
	v_pk_fma_f32 v[2:3], v[2:3], 0.5, v[42:43] op_sel_hi:[1,0,1] neg_lo:[1,0,0] neg_hi:[1,0,0]
	v_pk_add_f32 v[14:15], v[18:19], v[12:13] neg_lo:[0,1] neg_hi:[0,1]
	v_mov_b64_e32 v[36:37], v[28:29]
	v_pk_add_f32 v[22:23], v[6:7], v[14:15]
	v_pk_fma_f32 v[6:7], v[16:17], s[4:5], v[2:3] op_sel:[1,0,0] op_sel_hi:[0,0,1] neg_lo:[1,0,0] neg_hi:[1,0,0]
	v_pk_fma_f32 v[2:3], v[16:17], s[4:5], v[2:3] op_sel:[1,0,0] op_sel_hi:[0,0,1]
	v_pk_fma_f32 v[24:25], v[20:21], s[8:9], v[2:3] op_sel:[1,0,0] op_sel_hi:[0,0,1]
	v_pk_fma_f32 v[26:27], v[20:21], s[8:9], v[6:7] op_sel:[1,0,0] op_sel_hi:[0,0,1] neg_lo:[1,0,0] neg_hi:[1,0,0]
	v_mov_b32_e32 v2, v26
	v_mov_b32_e32 v3, v25
	v_pk_fma_f32 v[14:15], v[22:23], s[2:3], v[2:3] op_sel_hi:[1,0,1]
	v_pk_mul_f32 v[2:3], v[0:1], v[36:37] op_sel:[0,1]
	v_accvgpr_write_b32 a90, v38
	v_pk_fma_f32 v[28:29], v[0:1], v[36:37], v[2:3] op_sel:[0,0,1] op_sel_hi:[1,1,0] neg_lo:[0,0,1] neg_hi:[0,0,1]
	v_pk_fma_f32 v[0:1], v[0:1], v[36:37], v[2:3] op_sel:[0,0,1] op_sel_hi:[1,0,0]
	v_mov_b32_e32 v2, v39
	v_mov_b32_e32 v29, v1
	v_pk_mul_f32 v[0:1], v[4:5], v[2:3] op_sel_hi:[1,0]
	v_mov_b32_e32 v2, v55
	v_pk_fma_f32 v[30:31], v[4:5], v[38:39], v[0:1] op_sel:[0,0,1] op_sel_hi:[1,1,0] neg_lo:[0,0,1] neg_hi:[0,0,1]
	v_pk_fma_f32 v[0:1], v[4:5], v[38:39], v[0:1] op_sel:[0,0,1] op_sel_hi:[1,0,0]
	v_accvgpr_write_b32 a92, v39
	v_mov_b32_e32 v31, v1
	v_pk_mul_f32 v[0:1], v[34:35], v[52:53] op_sel:[0,1]
	v_accvgpr_write_b32 a89, v37
	v_pk_fma_f32 v[32:33], v[34:35], v[52:53], v[0:1] op_sel:[0,0,1] op_sel_hi:[1,1,0] neg_lo:[0,0,1] neg_hi:[0,0,1]
	v_pk_fma_f32 v[0:1], v[34:35], v[52:53], v[0:1] op_sel:[0,0,1] op_sel_hi:[1,0,0]
	v_accvgpr_write_b32 a88, v36
	v_mov_b32_e32 v33, v1
	v_pk_mul_f32 v[0:1], v[44:45], v[2:3] op_sel_hi:[1,0]
	v_pk_add_f32 v[2:3], v[28:29], v[30:31] neg_lo:[0,1] neg_hi:[0,1]
	v_pk_fma_f32 v[38:39], v[44:45], v[54:55], v[0:1] op_sel:[0,0,1] op_sel_hi:[1,1,0] neg_lo:[0,0,1] neg_hi:[0,0,1]
	v_pk_fma_f32 v[0:1], v[44:45], v[54:55], v[0:1] op_sel:[0,0,1] op_sel_hi:[1,0,0]
	v_pk_add_f32 v[44:45], v[30:31], v[32:33] neg_lo:[0,1] neg_hi:[0,1]
	v_mov_b32_e32 v39, v1
	v_pk_add_f32 v[0:1], v[30:31], v[32:33]
	v_pk_add_f32 v[36:37], v[28:29], v[38:39] neg_lo:[0,1] neg_hi:[0,1]
	v_pk_fma_f32 v[0:1], v[0:1], 0.5, v[40:41] op_sel_hi:[1,0,1] neg_lo:[1,0,0] neg_hi:[1,0,0]
	v_pk_add_f32 v[4:5], v[38:39], v[32:33] neg_lo:[0,1] neg_hi:[0,1]
	v_mov_b32_e32 v26, v73
	v_pk_add_f32 v[46:47], v[2:3], v[4:5]
	v_pk_fma_f32 v[2:3], v[36:37], s[4:5], v[0:1] op_sel:[1,0,0] op_sel_hi:[0,0,1] neg_lo:[1,0,0] neg_hi:[1,0,0]
	v_pk_fma_f32 v[0:1], v[36:37], s[4:5], v[0:1] op_sel:[1,0,0] op_sel_hi:[0,0,1]
	v_pk_fma_f32 v[52:53], v[44:45], s[8:9], v[0:1] op_sel:[1,0,0] op_sel_hi:[0,0,1]
	v_pk_fma_f32 v[54:55], v[44:45], s[8:9], v[2:3] op_sel:[1,0,0] op_sel_hi:[0,0,1] neg_lo:[1,0,0] neg_hi:[1,0,0]
	v_mov_b32_e32 v0, v54
	v_mov_b32_e32 v1, v53
	v_pk_fma_f32 v[34:35], v[46:47], s[2:3], v[0:1] op_sel_hi:[1,0,1]
	ds_read2_b64 v[0:3], v179 offset0:14 offset1:149
	ds_read2_b64 v[4:7], v173 offset0:56 offset1:191
	;; [unrolled: 1-line block ×5, first 2 shown]
	v_mov_b32_e32 v53, v55
	s_waitcnt lgkmcnt(3)
	v_pk_mul_f32 v[62:63], v[6:7], v[70:71] op_sel:[0,1]
	v_mov_b32_e32 v25, v27
	v_pk_fma_f32 v[60:61], v[6:7], v[70:71], v[62:63] op_sel:[0,0,1] op_sel_hi:[1,1,0] neg_lo:[0,0,1] neg_hi:[0,0,1]
	v_pk_fma_f32 v[6:7], v[6:7], v[70:71], v[62:63] op_sel:[0,0,1] op_sel_hi:[1,0,0]
	v_mov_b64_e32 v[70:71], v[68:69]
	v_mov_b32_e32 v61, v7
	s_waitcnt lgkmcnt(2)
	v_pk_mul_f32 v[6:7], v[94:95], v[26:27] op_sel_hi:[1,0]
	v_mov_b64_e32 v[68:69], v[66:67]
	v_pk_fma_f32 v[64:65], v[94:95], v[72:73], v[6:7] op_sel:[0,0,1] op_sel_hi:[1,1,0] neg_lo:[0,0,1] neg_hi:[0,0,1]
	v_pk_fma_f32 v[6:7], v[94:95], v[72:73], v[6:7] op_sel:[0,0,1] op_sel_hi:[1,0,0]
	v_mov_b32_e32 v26, v71
	v_mov_b32_e32 v65, v7
	s_waitcnt lgkmcnt(1)
	v_pk_mul_f32 v[6:7], v[100:101], v[68:69] op_sel:[0,1]
	v_accvgpr_write_b32 a102, v70
	v_pk_fma_f32 v[66:67], v[100:101], v[68:69], v[6:7] op_sel:[0,0,1] op_sel_hi:[1,1,0] neg_lo:[0,0,1] neg_hi:[0,0,1]
	v_pk_fma_f32 v[6:7], v[100:101], v[68:69], v[6:7] op_sel:[0,0,1] op_sel_hi:[1,0,0]
	v_accvgpr_write_b32 a101, v69
	v_mov_b32_e32 v67, v7
	s_waitcnt lgkmcnt(0)
	v_pk_mul_f32 v[6:7], v[104:105], v[26:27] op_sel_hi:[1,0]
	v_accvgpr_write_b32 a100, v68
	v_pk_fma_f32 v[72:73], v[104:105], v[70:71], v[6:7] op_sel:[0,0,1] op_sel_hi:[1,1,0] neg_lo:[0,0,1] neg_hi:[0,0,1]
	v_pk_fma_f32 v[6:7], v[104:105], v[70:71], v[6:7] op_sel:[0,0,1] op_sel_hi:[1,0,0]
	v_pk_add_f32 v[62:63], v[60:61], v[64:65] neg_lo:[0,1] neg_hi:[0,1]
	v_mov_b32_e32 v73, v7
	v_pk_add_f32 v[6:7], v[64:65], v[66:67]
	v_pk_add_f32 v[68:69], v[60:61], v[72:73] neg_lo:[0,1] neg_hi:[0,1]
	v_pk_fma_f32 v[6:7], v[6:7], 0.5, v[2:3] op_sel_hi:[1,0,1] neg_lo:[1,0,0] neg_hi:[1,0,0]
	v_pk_add_f32 v[74:75], v[72:73], v[66:67] neg_lo:[0,1] neg_hi:[0,1]
	v_accvgpr_write_b32 a104, v71
	v_pk_add_f32 v[70:71], v[64:65], v[66:67] neg_lo:[0,1] neg_hi:[0,1]
	v_pk_add_f32 v[74:75], v[62:63], v[74:75]
	v_pk_fma_f32 v[62:63], v[68:69], s[4:5], v[6:7] op_sel:[1,0,0] op_sel_hi:[0,0,1] neg_lo:[1,0,0] neg_hi:[1,0,0]
	v_pk_fma_f32 v[6:7], v[68:69], s[4:5], v[6:7] op_sel:[1,0,0] op_sel_hi:[0,0,1]
	v_pk_fma_f32 v[76:77], v[70:71], s[8:9], v[6:7] op_sel:[1,0,0] op_sel_hi:[0,0,1]
	v_pk_fma_f32 v[84:85], v[70:71], s[8:9], v[62:63] op_sel:[1,0,0] op_sel_hi:[0,0,1] neg_lo:[1,0,0] neg_hi:[1,0,0]
	v_mov_b64_e32 v[96:97], v[90:91]
	v_mov_b32_e32 v6, v84
	v_mov_b32_e32 v7, v77
	v_mov_b64_e32 v[94:95], v[88:89]
	v_pk_fma_f32 v[62:63], v[74:75], s[2:3], v[6:7] op_sel_hi:[1,0,1]
	v_pk_mul_f32 v[6:7], v[4:5], v[94:95] op_sel:[0,1]
	v_accvgpr_write_b32 a64, v94
	v_pk_fma_f32 v[88:89], v[4:5], v[94:95], v[6:7] op_sel:[0,0,1] op_sel_hi:[1,1,0] neg_lo:[0,0,1] neg_hi:[0,0,1]
	v_pk_fma_f32 v[4:5], v[4:5], v[94:95], v[6:7] op_sel:[0,0,1] op_sel_hi:[1,0,0]
	v_mov_b32_e32 v6, v97
	v_mov_b32_e32 v89, v5
	v_pk_mul_f32 v[4:5], v[92:93], v[6:7] op_sel_hi:[1,0]
	v_accvgpr_write_b32 a106, v97
	v_pk_fma_f32 v[90:91], v[92:93], v[96:97], v[4:5] op_sel:[0,0,1] op_sel_hi:[1,1,0] neg_lo:[0,0,1] neg_hi:[0,0,1]
	v_pk_fma_f32 v[4:5], v[92:93], v[96:97], v[4:5] op_sel:[0,0,1] op_sel_hi:[1,0,0]
	v_accvgpr_write_b32 a65, v95
	v_mov_b32_e32 v91, v5
	v_pk_mul_f32 v[4:5], v[98:99], v[116:117] op_sel:[0,1]
	v_accvgpr_write_b32 a66, v96
	v_pk_fma_f32 v[96:97], v[98:99], v[116:117], v[4:5] op_sel:[0,0,1] op_sel_hi:[1,1,0] neg_lo:[0,0,1] neg_hi:[0,0,1]
	v_pk_fma_f32 v[4:5], v[98:99], v[116:117], v[4:5] op_sel:[0,0,1] op_sel_hi:[1,0,0]
	v_mov_b32_e32 v6, v119
	v_mov_b32_e32 v97, v5
	v_pk_mul_f32 v[4:5], v[102:103], v[6:7] op_sel_hi:[1,0]
	v_pk_add_f32 v[6:7], v[88:89], v[90:91] neg_lo:[0,1] neg_hi:[0,1]
	v_pk_fma_f32 v[98:99], v[102:103], v[118:119], v[4:5] op_sel:[0,0,1] op_sel_hi:[1,1,0] neg_lo:[0,0,1] neg_hi:[0,0,1]
	v_pk_fma_f32 v[4:5], v[102:103], v[118:119], v[4:5] op_sel:[0,0,1] op_sel_hi:[1,0,0]
	v_pk_add_f32 v[94:95], v[90:91], v[96:97] neg_lo:[0,1] neg_hi:[0,1]
	v_mov_b32_e32 v99, v5
	v_pk_add_f32 v[4:5], v[90:91], v[96:97]
	v_pk_add_f32 v[92:93], v[88:89], v[98:99] neg_lo:[0,1] neg_hi:[0,1]
	v_pk_fma_f32 v[4:5], v[4:5], 0.5, v[0:1] op_sel_hi:[1,0,1] neg_lo:[1,0,0] neg_hi:[1,0,0]
	v_pk_add_f32 v[78:79], v[98:99], v[96:97] neg_lo:[0,1] neg_hi:[0,1]
	v_mov_b64_e32 v[118:119], v[108:109]
	v_pk_add_f32 v[100:101], v[6:7], v[78:79]
	v_pk_fma_f32 v[6:7], v[92:93], s[4:5], v[4:5] op_sel:[1,0,0] op_sel_hi:[0,0,1] neg_lo:[1,0,0] neg_hi:[1,0,0]
	v_pk_fma_f32 v[4:5], v[92:93], s[4:5], v[4:5] op_sel:[1,0,0] op_sel_hi:[0,0,1]
	v_pk_fma_f32 v[102:103], v[94:95], s[8:9], v[4:5] op_sel:[1,0,0] op_sel_hi:[0,0,1]
	v_pk_fma_f32 v[104:105], v[94:95], s[8:9], v[6:7] op_sel:[1,0,0] op_sel_hi:[0,0,1] neg_lo:[1,0,0] neg_hi:[1,0,0]
	v_mov_b32_e32 v4, v104
	v_mov_b32_e32 v5, v103
	v_pk_fma_f32 v[78:79], v[100:101], s[2:3], v[4:5] op_sel_hi:[1,0,1]
	ds_read2_b64 v[4:7], v196 offset1:135
	ds_read2_b64 v[128:131], v175 offset0:42 offset1:177
	ds_read2_b64 v[136:139], v241 offset0:84 offset1:219
	;; [unrolled: 1-line block ×4, first 2 shown]
	v_mov_b64_e32 v[116:117], v[106:107]
	s_waitcnt lgkmcnt(3)
	v_pk_mul_f32 v[106:107], v[130:131], v[116:117] op_sel:[0,1]
	v_mov_b32_e32 v26, v119
	v_pk_fma_f32 v[108:109], v[130:131], v[116:117], v[106:107] op_sel:[0,0,1] op_sel_hi:[1,1,0] neg_lo:[0,0,1] neg_hi:[0,0,1]
	v_pk_fma_f32 v[106:107], v[130:131], v[116:117], v[106:107] op_sel:[0,0,1] op_sel_hi:[1,0,0]
	v_accvgpr_write_b32 a108, v116
	v_mov_b32_e32 v109, v107
	s_waitcnt lgkmcnt(2)
	v_pk_mul_f32 v[106:107], v[138:139], v[26:27] op_sel_hi:[1,0]
	v_accvgpr_write_b32 a112, v119
	v_pk_fma_f32 v[110:111], v[138:139], v[118:119], v[106:107] op_sel:[0,0,1] op_sel_hi:[1,1,0] neg_lo:[0,0,1] neg_hi:[0,0,1]
	v_pk_fma_f32 v[106:107], v[138:139], v[118:119], v[106:107] op_sel:[0,0,1] op_sel_hi:[1,0,0]
	v_accvgpr_write_b32 a109, v117
	v_accvgpr_write_b32 a110, v118
	;; [unrolled: 1-line block ×3, first 2 shown]
	v_mov_b64_e32 v[120:121], v[114:115]
	v_mov_b64_e32 v[118:119], v[112:113]
	v_mov_b32_e32 v111, v107
	s_waitcnt lgkmcnt(1)
	v_pk_mul_f32 v[106:107], v[146:147], v[118:119] op_sel:[0,1]
	v_mov_b32_e32 v26, v121
	v_pk_fma_f32 v[112:113], v[146:147], v[118:119], v[106:107] op_sel:[0,0,1] op_sel_hi:[1,1,0] neg_lo:[0,0,1] neg_hi:[0,0,1]
	v_pk_fma_f32 v[106:107], v[146:147], v[118:119], v[106:107] op_sel:[0,0,1] op_sel_hi:[1,0,0]
	v_pk_mul_f32 v[130:131], v[128:129], v[164:165] op_sel:[0,1]
	v_mov_b32_e32 v113, v107
	s_waitcnt lgkmcnt(0)
	v_pk_mul_f32 v[106:107], v[150:151], v[26:27] op_sel_hi:[1,0]
	v_pk_fma_f32 v[138:139], v[128:129], v[164:165], v[130:131] op_sel:[0,0,1] op_sel_hi:[1,1,0] neg_lo:[0,0,1] neg_hi:[0,0,1]
	v_pk_fma_f32 v[128:129], v[128:129], v[164:165], v[130:131] op_sel:[0,0,1] op_sel_hi:[1,0,0]
	v_mov_b32_e32 v26, v167
	v_mov_b32_e32 v139, v129
	v_pk_mul_f32 v[128:129], v[136:137], v[26:27] op_sel_hi:[1,0]
	v_mov_b32_e32 v26, v155
	v_pk_fma_f32 v[130:131], v[136:137], v[166:167], v[128:129] op_sel:[0,0,1] op_sel_hi:[1,1,0] neg_lo:[0,0,1] neg_hi:[0,0,1]
	v_pk_fma_f32 v[128:129], v[136:137], v[166:167], v[128:129] op_sel:[0,0,1] op_sel_hi:[1,0,0]
	v_pk_fma_f32 v[116:117], v[150:151], v[120:121], v[106:107] op_sel:[0,0,1] op_sel_hi:[1,1,0] neg_lo:[0,0,1] neg_hi:[0,0,1]
	v_mov_b32_e32 v131, v129
	v_pk_mul_f32 v[128:129], v[144:145], v[152:153] op_sel:[0,1]
	v_pk_fma_f32 v[106:107], v[150:151], v[120:121], v[106:107] op_sel:[0,0,1] op_sel_hi:[1,0,0]
	v_pk_fma_f32 v[136:137], v[144:145], v[152:153], v[128:129] op_sel:[0,0,1] op_sel_hi:[1,1,0] neg_lo:[0,0,1] neg_hi:[0,0,1]
	v_pk_fma_f32 v[128:129], v[144:145], v[152:153], v[128:129] op_sel:[0,0,1] op_sel_hi:[1,0,0]
	s_nop 0
	v_mov_b32_e32 v137, v129
	v_pk_mul_f32 v[128:129], v[148:149], v[26:27] op_sel_hi:[1,0]
	v_pk_add_f32 v[144:145], v[130:131], v[136:137]
	v_pk_fma_f32 v[140:141], v[148:149], v[154:155], v[128:129] op_sel:[0,0,1] op_sel_hi:[1,1,0] neg_lo:[0,0,1] neg_hi:[0,0,1]
	v_pk_fma_f32 v[128:129], v[148:149], v[154:155], v[128:129] op_sel:[0,0,1] op_sel_hi:[1,0,0]
	v_pk_fma_f32 v[144:145], v[144:145], 0.5, v[4:5] op_sel_hi:[1,0,1] neg_lo:[1,0,0] neg_hi:[1,0,0]
	v_mov_b32_e32 v141, v129
	v_pk_add_f32 v[146:147], v[138:139], v[140:141] neg_lo:[0,1] neg_hi:[0,1]
	v_pk_add_f32 v[150:151], v[130:131], v[136:137] neg_lo:[0,1] neg_hi:[0,1]
	v_pk_mul_f32 v[148:149], v[146:147], s[4:5] op_sel_hi:[1,0]
	v_pk_add_f32 v[154:155], v[138:139], v[130:131] neg_lo:[0,1] neg_hi:[0,1]
	v_pk_add_f32 v[156:157], v[140:141], v[136:137] neg_lo:[0,1] neg_hi:[0,1]
	v_pk_add_f32 v[128:129], v[4:5], v[138:139]
	v_pk_mul_f32 v[152:153], v[150:151], s[8:9] op_sel_hi:[1,0]
	v_pk_add_f32 v[154:155], v[154:155], v[156:157]
	v_pk_add_f32 v[156:157], v[144:145], v[148:149] op_sel:[0,1] op_sel_hi:[1,0]
	v_pk_add_f32 v[144:145], v[144:145], v[148:149] op_sel:[0,1] op_sel_hi:[1,0] neg_lo:[0,1] neg_hi:[0,1]
	v_pk_add_f32 v[128:129], v[128:129], v[130:131]
	v_pk_add_f32 v[144:145], v[144:145], v[152:153] op_sel:[0,1] op_sel_hi:[1,0] neg_lo:[0,1] neg_hi:[0,1]
	v_pk_add_f32 v[148:149], v[156:157], v[152:153] op_sel:[0,1] op_sel_hi:[1,0]
	v_pk_add_f32 v[128:129], v[128:129], v[136:137]
	v_mov_b32_e32 v152, v148
	v_mov_b32_e32 v153, v145
	v_pk_add_f32 v[128:129], v[128:129], v[140:141]
	v_pk_fma_f32 v[152:153], v[154:155], s[2:3], v[152:153] op_sel_hi:[1,0,1]
	s_barrier
	ds_write2_b64 v163, v[128:129], v[152:153] offset1:10
	v_pk_add_f32 v[128:129], v[138:139], v[140:141]
	v_mov_b32_e32 v117, v107
	v_pk_fma_f32 v[4:5], v[128:129], 0.5, v[4:5] op_sel_hi:[1,0,1] neg_lo:[1,0,0] neg_hi:[1,0,0]
	v_pk_add_f32 v[128:129], v[130:131], v[138:139] neg_lo:[0,1] neg_hi:[0,1]
	v_pk_add_f32 v[130:131], v[136:137], v[140:141] neg_lo:[0,1] neg_hi:[0,1]
	v_pk_mul_f32 v[136:137], v[146:147], s[8:9] op_sel_hi:[1,0]
	v_pk_add_f32 v[128:129], v[128:129], v[130:131]
	v_pk_mul_f32 v[130:131], v[150:151], s[4:5] op_sel_hi:[1,0]
	v_pk_add_f32 v[106:107], v[110:111], v[112:113]
	v_pk_add_f32 v[138:139], v[4:5], v[130:131] op_sel:[0,1] op_sel_hi:[1,0] neg_lo:[0,1] neg_hi:[0,1]
	v_pk_add_f32 v[4:5], v[4:5], v[130:131] op_sel:[0,1] op_sel_hi:[1,0]
	v_pk_add_f32 v[130:131], v[138:139], v[136:137] op_sel:[0,1] op_sel_hi:[1,0]
	v_pk_add_f32 v[4:5], v[4:5], v[136:137] op_sel:[0,1] op_sel_hi:[1,0] neg_lo:[0,1] neg_hi:[0,1]
	v_mov_b32_e32 v136, v130
	v_mov_b32_e32 v137, v5
	;; [unrolled: 1-line block ×3, first 2 shown]
	v_pk_fma_f32 v[136:137], v[128:129], s[2:3], v[136:137] op_sel_hi:[1,0,1]
	v_pk_fma_f32 v[4:5], v[128:129], s[2:3], v[4:5] op_sel_hi:[1,0,1]
	v_mov_b32_e32 v145, v149
	v_accvgpr_write_b32 a114, v118
	v_pk_fma_f32 v[106:107], v[106:107], 0.5, v[6:7] op_sel_hi:[1,0,1] neg_lo:[1,0,0] neg_hi:[1,0,0]
	v_pk_add_f32 v[114:115], v[108:109], v[116:117] neg_lo:[0,1] neg_hi:[0,1]
	ds_write2_b64 v163, v[136:137], v[4:5] offset0:20 offset1:30
	v_pk_fma_f32 v[4:5], v[154:155], s[2:3], v[144:145] op_sel_hi:[1,0,1]
	v_accvgpr_write_b32 a118, v121
	v_accvgpr_write_b32 a115, v119
	;; [unrolled: 1-line block ×4, first 2 shown]
	v_pk_add_f32 v[118:119], v[110:111], v[112:113] neg_lo:[0,1] neg_hi:[0,1]
	v_pk_add_f32 v[120:121], v[108:109], v[110:111] neg_lo:[0,1] neg_hi:[0,1]
	;; [unrolled: 1-line block ×3, first 2 shown]
	v_pk_fma_f32 v[124:125], v[114:115], s[4:5], v[106:107] op_sel:[1,0,0] op_sel_hi:[0,0,1] neg_lo:[1,0,0] neg_hi:[1,0,0]
	v_pk_fma_f32 v[106:107], v[114:115], s[4:5], v[106:107] op_sel:[1,0,0] op_sel_hi:[0,0,1]
	ds_write_b64 v163, v[4:5] offset:320
	v_pk_add_f32 v[4:5], v[6:7], v[108:109]
	v_pk_add_f32 v[120:121], v[120:121], v[122:123]
	v_pk_fma_f32 v[122:123], v[118:119], s[8:9], v[106:107] op_sel:[1,0,0] op_sel_hi:[0,0,1]
	v_pk_fma_f32 v[124:125], v[118:119], s[8:9], v[124:125] op_sel:[1,0,0] op_sel_hi:[0,0,1] neg_lo:[1,0,0] neg_hi:[1,0,0]
	v_pk_add_f32 v[4:5], v[4:5], v[110:111]
	v_mov_b32_e32 v106, v124
	v_mov_b32_e32 v107, v123
	v_pk_add_f32 v[4:5], v[4:5], v[112:113]
	v_mov_b32_e32 v123, v125
	v_pk_fma_f32 v[106:107], v[120:121], s[2:3], v[106:107] op_sel_hi:[1,0,1]
	v_pk_add_f32 v[4:5], v[4:5], v[116:117]
	v_pk_fma_f32 v[120:121], v[120:121], s[2:3], v[122:123] op_sel_hi:[1,0,1]
	ds_write2_b64 v162, v[4:5], v[120:121] offset1:10
	v_pk_add_f32 v[4:5], v[108:109], v[116:117]
	v_mov_b32_e32 v103, v105
	v_pk_fma_f32 v[4:5], v[4:5], 0.5, v[6:7] op_sel_hi:[1,0,1] neg_lo:[1,0,0] neg_hi:[1,0,0]
	v_pk_add_f32 v[6:7], v[110:111], v[108:109] neg_lo:[0,1] neg_hi:[0,1]
	v_pk_add_f32 v[108:109], v[112:113], v[116:117] neg_lo:[0,1] neg_hi:[0,1]
	v_mov_b32_e32 v77, v85
	v_pk_add_f32 v[6:7], v[6:7], v[108:109]
	v_pk_fma_f32 v[108:109], v[118:119], s[4:5], v[4:5] op_sel:[1,0,0] op_sel_hi:[0,0,1]
	v_pk_fma_f32 v[4:5], v[118:119], s[4:5], v[4:5] op_sel:[1,0,0] op_sel_hi:[0,0,1] neg_lo:[1,0,0] neg_hi:[1,0,0]
	v_pk_fma_f32 v[4:5], v[114:115], s[8:9], v[4:5] op_sel:[1,0,0] op_sel_hi:[0,0,1]
	v_pk_fma_f32 v[108:109], v[114:115], s[8:9], v[108:109] op_sel:[1,0,0] op_sel_hi:[0,0,1] neg_lo:[1,0,0] neg_hi:[1,0,0]
	v_mov_b32_e32 v110, v108
	v_mov_b32_e32 v111, v5
	v_mov_b32_e32 v5, v109
	v_pk_fma_f32 v[110:111], v[6:7], s[2:3], v[110:111] op_sel_hi:[1,0,1]
	v_pk_fma_f32 v[4:5], v[6:7], s[2:3], v[4:5] op_sel_hi:[1,0,1]
	ds_write2_b64 v162, v[4:5], v[110:111] offset0:20 offset1:30
	ds_write_b64 v162, v[106:107] offset:320
	v_pk_add_f32 v[4:5], v[0:1], v[88:89]
	v_pk_fma_f32 v[6:7], v[100:101], s[2:3], v[102:103] op_sel_hi:[1,0,1]
	v_pk_add_f32 v[4:5], v[4:5], v[90:91]
	v_lshrrev_b16_e32 v51, 1, v134
	v_pk_add_f32 v[4:5], v[4:5], v[96:97]
	v_lshrrev_b16_e32 v84, 1, v170
	v_pk_add_f32 v[4:5], v[4:5], v[98:99]
	ds_write2_b64 v161, v[4:5], v[6:7] offset1:10
	v_pk_add_f32 v[4:5], v[88:89], v[98:99]
	v_pk_add_f32 v[6:7], v[96:97], v[98:99] neg_lo:[0,1] neg_hi:[0,1]
	v_pk_fma_f32 v[0:1], v[4:5], 0.5, v[0:1] op_sel_hi:[1,0,1] neg_lo:[1,0,0] neg_hi:[1,0,0]
	v_pk_add_f32 v[4:5], v[90:91], v[88:89] neg_lo:[0,1] neg_hi:[0,1]
	v_lshrrev_b16_e32 v85, 1, v174
	v_pk_add_f32 v[4:5], v[4:5], v[6:7]
	v_pk_fma_f32 v[6:7], v[94:95], s[4:5], v[0:1] op_sel:[1,0,0] op_sel_hi:[0,0,1]
	v_pk_fma_f32 v[0:1], v[94:95], s[4:5], v[0:1] op_sel:[1,0,0] op_sel_hi:[0,0,1] neg_lo:[1,0,0] neg_hi:[1,0,0]
	v_pk_fma_f32 v[0:1], v[92:93], s[8:9], v[0:1] op_sel:[1,0,0] op_sel_hi:[0,0,1]
	v_pk_fma_f32 v[6:7], v[92:93], s[8:9], v[6:7] op_sel:[1,0,0] op_sel_hi:[0,0,1] neg_lo:[1,0,0] neg_hi:[1,0,0]
	v_mov_b32_e32 v88, v6
	v_mov_b32_e32 v89, v1
	;; [unrolled: 1-line block ×3, first 2 shown]
	v_pk_fma_f32 v[88:89], v[4:5], s[2:3], v[88:89] op_sel_hi:[1,0,1]
	v_pk_fma_f32 v[0:1], v[4:5], s[2:3], v[0:1] op_sel_hi:[1,0,1]
	ds_write2_b64 v161, v[0:1], v[88:89] offset0:20 offset1:30
	ds_write_b64 v161, v[78:79] offset:320
	v_pk_add_f32 v[0:1], v[2:3], v[60:61]
	v_pk_fma_f32 v[4:5], v[74:75], s[2:3], v[76:77] op_sel_hi:[1,0,1]
	v_pk_add_f32 v[0:1], v[0:1], v[64:65]
	v_lshrrev_b16_e32 v78, 1, v172
	v_pk_add_f32 v[0:1], v[0:1], v[66:67]
	v_lshrrev_b16_e32 v79, 1, v178
	v_pk_add_f32 v[0:1], v[0:1], v[72:73]
	ds_write2_b64 v160, v[0:1], v[4:5] offset1:10
	v_pk_add_f32 v[0:1], v[60:61], v[72:73]
	v_pk_add_f32 v[4:5], v[66:67], v[72:73] neg_lo:[0,1] neg_hi:[0,1]
	v_pk_fma_f32 v[0:1], v[0:1], 0.5, v[2:3] op_sel_hi:[1,0,1] neg_lo:[1,0,0] neg_hi:[1,0,0]
	v_pk_add_f32 v[2:3], v[64:65], v[60:61] neg_lo:[0,1] neg_hi:[0,1]
	v_lshrrev_b16_e32 v128, 1, v210
	v_pk_add_f32 v[2:3], v[2:3], v[4:5]
	v_pk_fma_f32 v[4:5], v[70:71], s[4:5], v[0:1] op_sel:[1,0,0] op_sel_hi:[0,0,1]
	v_pk_fma_f32 v[0:1], v[70:71], s[4:5], v[0:1] op_sel:[1,0,0] op_sel_hi:[0,0,1] neg_lo:[1,0,0] neg_hi:[1,0,0]
	v_pk_fma_f32 v[0:1], v[68:69], s[8:9], v[0:1] op_sel:[1,0,0] op_sel_hi:[0,0,1]
	v_pk_fma_f32 v[4:5], v[68:69], s[8:9], v[4:5] op_sel:[1,0,0] op_sel_hi:[0,0,1] neg_lo:[1,0,0] neg_hi:[1,0,0]
	v_mov_b32_e32 v6, v4
	v_mov_b32_e32 v7, v1
	;; [unrolled: 1-line block ×3, first 2 shown]
	v_pk_fma_f32 v[6:7], v[2:3], s[2:3], v[6:7] op_sel_hi:[1,0,1]
	v_pk_fma_f32 v[0:1], v[2:3], s[2:3], v[0:1] op_sel_hi:[1,0,1]
	ds_write2_b64 v160, v[0:1], v[6:7] offset0:20 offset1:30
	ds_write_b64 v160, v[62:63] offset:320
	v_pk_add_f32 v[0:1], v[40:41], v[28:29]
	v_pk_fma_f32 v[2:3], v[46:47], s[2:3], v[52:53] op_sel_hi:[1,0,1]
	v_pk_add_f32 v[0:1], v[0:1], v[30:31]
	v_pk_add_f32 v[4:5], v[32:33], v[38:39] neg_lo:[0,1] neg_hi:[0,1]
	v_pk_add_f32 v[0:1], v[0:1], v[32:33]
	v_lshrrev_b16_e32 v129, 1, v168
	v_pk_add_f32 v[0:1], v[0:1], v[38:39]
	ds_write2_b64 v159, v[0:1], v[2:3] offset1:10
	v_pk_add_f32 v[0:1], v[28:29], v[38:39]
	v_pk_add_f32 v[2:3], v[30:31], v[28:29] neg_lo:[0,1] neg_hi:[0,1]
	v_pk_fma_f32 v[0:1], v[0:1], 0.5, v[40:41] op_sel_hi:[1,0,1] neg_lo:[1,0,0] neg_hi:[1,0,0]
	v_pk_add_f32 v[2:3], v[2:3], v[4:5]
	v_pk_fma_f32 v[4:5], v[44:45], s[4:5], v[0:1] op_sel:[1,0,0] op_sel_hi:[0,0,1]
	v_pk_fma_f32 v[0:1], v[44:45], s[4:5], v[0:1] op_sel:[1,0,0] op_sel_hi:[0,0,1] neg_lo:[1,0,0] neg_hi:[1,0,0]
	v_pk_fma_f32 v[0:1], v[36:37], s[8:9], v[0:1] op_sel:[1,0,0] op_sel_hi:[0,0,1]
	v_pk_fma_f32 v[4:5], v[36:37], s[8:9], v[4:5] op_sel:[1,0,0] op_sel_hi:[0,0,1] neg_lo:[1,0,0] neg_hi:[1,0,0]
	v_mov_b32_e32 v6, v4
	v_mov_b32_e32 v7, v1
	;; [unrolled: 1-line block ×3, first 2 shown]
	v_pk_fma_f32 v[6:7], v[2:3], s[2:3], v[6:7] op_sel_hi:[1,0,1]
	v_pk_fma_f32 v[0:1], v[2:3], s[2:3], v[0:1] op_sel_hi:[1,0,1]
	ds_write2_b64 v159, v[0:1], v[6:7] offset0:20 offset1:30
	ds_write_b64 v159, v[34:35] offset:320
	v_pk_add_f32 v[0:1], v[42:43], v[8:9]
	v_pk_fma_f32 v[2:3], v[22:23], s[2:3], v[24:25] op_sel_hi:[1,0,1]
	v_pk_add_f32 v[0:1], v[0:1], v[10:11]
	v_pk_add_f32 v[4:5], v[12:13], v[18:19] neg_lo:[0,1] neg_hi:[0,1]
	v_pk_add_f32 v[0:1], v[0:1], v[12:13]
	s_nop 0
	v_pk_add_f32 v[0:1], v[0:1], v[18:19]
	ds_write2_b64 v158, v[0:1], v[2:3] offset1:10
	v_pk_add_f32 v[0:1], v[8:9], v[18:19]
	v_pk_add_f32 v[2:3], v[10:11], v[8:9] neg_lo:[0,1] neg_hi:[0,1]
	v_pk_fma_f32 v[0:1], v[0:1], 0.5, v[42:43] op_sel_hi:[1,0,1] neg_lo:[1,0,0] neg_hi:[1,0,0]
	v_pk_add_f32 v[2:3], v[2:3], v[4:5]
	v_pk_fma_f32 v[4:5], v[20:21], s[4:5], v[0:1] op_sel:[1,0,0] op_sel_hi:[0,0,1]
	v_pk_fma_f32 v[0:1], v[20:21], s[4:5], v[0:1] op_sel:[1,0,0] op_sel_hi:[0,0,1] neg_lo:[1,0,0] neg_hi:[1,0,0]
	v_pk_fma_f32 v[0:1], v[16:17], s[8:9], v[0:1] op_sel:[1,0,0] op_sel_hi:[0,0,1]
	v_pk_fma_f32 v[4:5], v[16:17], s[8:9], v[4:5] op_sel:[1,0,0] op_sel_hi:[0,0,1] neg_lo:[1,0,0] neg_hi:[1,0,0]
	v_mov_b32_e32 v6, v4
	v_mov_b32_e32 v7, v1
	;; [unrolled: 1-line block ×3, first 2 shown]
	v_pk_fma_f32 v[6:7], v[2:3], s[2:3], v[6:7] op_sel_hi:[1,0,1]
	v_pk_fma_f32 v[0:1], v[2:3], s[2:3], v[0:1] op_sel_hi:[1,0,1]
	ds_write2_b64 v158, v[0:1], v[6:7] offset0:20 offset1:30
	ds_write_b64 v158, v[14:15] offset:320
	v_mov_b32_e32 v0, 41
	v_mul_lo_u16_sdwa v0, v80, v0 dst_sel:DWORD dst_unused:UNUSED_PAD src0_sel:BYTE_0 src1_sel:DWORD
	v_lshrrev_b16_e32 v2, 11, v0
	v_mul_lo_u16_e32 v0, 50, v2
	v_sub_u16_e32 v0, v80, v0
	v_and_b32_e32 v3, 0xff, v0
	v_lshlrev_b32_e32 v0, 4, v3
	s_waitcnt lgkmcnt(0)
	s_barrier
	global_load_dwordx4 v[148:151], v0, s[6:7] offset:320
	v_lshrrev_b16_e32 v0, 1, v82
	v_mul_u32_u24_e32 v0, 0x147b, v0
	v_lshrrev_b32_e32 v4, 17, v0
	v_mul_lo_u16_e32 v0, 50, v4
	v_sub_u16_e32 v5, v82, v0
	v_lshlrev_b16_e32 v0, 4, v5
	v_mov_b32_e32 v1, v197
	v_lshl_add_u64 v[0:1], s[6:7], 0, v[0:1]
	global_load_dwordx4 v[154:157], v[0:1], off offset:320
	v_mul_u32_u24_e32 v0, 0x147b, v51
	v_lshrrev_b32_e32 v6, 17, v0
	v_mul_lo_u16_e32 v0, 50, v6
	v_sub_u16_e32 v7, v134, v0
	v_lshlrev_b16_e32 v0, 4, v7
	v_mov_b32_e32 v1, v197
	v_lshl_add_u64 v[0:1], s[6:7], 0, v[0:1]
	global_load_dwordx4 v[136:139], v[0:1], off offset:320
	;; [unrolled: 8-line block ×9, first 2 shown]
	s_movk_i32 s5, 0x96
	v_mul_u32_u24_e32 v0, 0x96, v2
	v_add_lshl_u32 v165, v0, v3, 3
	v_mad_legacy_u16 v0, v4, s5, v5
	v_lshlrev_b32_e32 v164, 3, v0
	v_mad_legacy_u16 v0, v6, s5, v7
	v_lshlrev_b32_e32 v163, 3, v0
	v_mad_legacy_u16 v0, v8, s5, v9
	v_lshlrev_b32_e32 v162, 3, v0
	v_mad_legacy_u16 v0, v10, s5, v11
	v_lshlrev_b32_e32 v161, 3, v0
	v_mad_legacy_u16 v0, v12, s5, v13
	v_lshlrev_b32_e32 v160, 3, v0
	v_mad_legacy_u16 v0, v14, s5, v15
	v_lshlrev_b32_e32 v159, 3, v0
	v_mad_legacy_u16 v0, v16, s5, v17
	v_lshlrev_b32_e32 v158, 3, v0
	v_mad_legacy_u16 v0, v18, s5, v19
	v_lshlrev_b32_e32 v153, 3, v0
	v_mad_legacy_u16 v0, v20, s5, v21
	v_lshlrev_b32_e32 v152, 3, v0
	ds_read2_b64 v[88:91], v173 offset0:56 offset1:191
	ds_read2_b64 v[0:3], v171 offset0:62 offset1:197
	ds_read2_b64 v[4:7], v177 offset0:68 offset1:203
	s_waitcnt vmcnt(8)
	v_mov_b32_e32 v130, v157
	s_waitcnt vmcnt(7)
	v_accvgpr_write_b32 a156, v138
	v_accvgpr_write_b32 a158, v139
	;; [unrolled: 1-line block ×7, first 2 shown]
	s_movk_i32 s5, 0x1c2
	s_waitcnt vmcnt(6)
	v_accvgpr_write_b32 a150, v120
	v_accvgpr_write_b32 a152, v121
	v_accvgpr_write_b32 a149, v119
	v_accvgpr_write_b32 a148, v118
	v_accvgpr_write_b32 a170, v151
	v_accvgpr_write_b32 a113, v153
	v_accvgpr_write_b32 a119, v152
	v_accvgpr_write_b32 a107, v159
	s_waitcnt vmcnt(5)
	v_accvgpr_write_b32 a144, v46
	v_accvgpr_write_b32 a146, v47
	v_accvgpr_write_b32 a143, v45
	v_accvgpr_write_b32 a142, v44
	v_accvgpr_write_b32 a67, v158
	v_accvgpr_write_b32 a162, v156
	v_accvgpr_write_b32 a164, v157
	v_accvgpr_write_b32 a161, v155
	;; [unrolled: 9-line block ×3, first 2 shown]
	s_waitcnt vmcnt(3)
	v_accvgpr_write_b32 a138, v75
	s_waitcnt vmcnt(2)
	v_accvgpr_write_b32 a136, v67
	;; [unrolled: 2-line block ×3, first 2 shown]
	s_waitcnt vmcnt(0) lgkmcnt(1)
	v_pk_mul_f32 v[8:9], v[2:3], v[60:61] op_sel:[0,1]
	s_nop 0
	v_pk_fma_f32 v[22:23], v[2:3], v[60:61], v[8:9] op_sel:[0,0,1] op_sel_hi:[1,1,0] neg_lo:[0,0,1] neg_hi:[0,0,1]
	v_pk_fma_f32 v[2:3], v[2:3], v[60:61], v[8:9] op_sel:[0,0,1] op_sel_hi:[1,0,0]
	v_mov_b32_e32 v8, v63
	v_mov_b32_e32 v23, v3
	s_waitcnt lgkmcnt(0)
	v_pk_mul_f32 v[2:3], v[6:7], v[8:9] op_sel_hi:[1,0]
	v_accvgpr_write_b32 a132, v63
	v_pk_fma_f32 v[20:21], v[6:7], v[62:63], v[2:3] op_sel:[0,0,1] op_sel_hi:[1,1,0] neg_lo:[0,0,1] neg_hi:[0,0,1]
	v_pk_fma_f32 v[2:3], v[6:7], v[62:63], v[2:3] op_sel:[0,0,1] op_sel_hi:[1,0,0]
	s_nop 0
	v_mov_b32_e32 v21, v3
	v_pk_add_f32 v[2:3], v[22:23], v[20:21]
	v_pk_add_f32 v[6:7], v[22:23], v[20:21] neg_lo:[0,1] neg_hi:[0,1]
	v_pk_fma_f32 v[2:3], v[2:3], 0.5, v[90:91] op_sel_hi:[1,0,1] neg_lo:[1,0,0] neg_hi:[1,0,0]
	v_pk_mul_f32 v[6:7], v[6:7], s[10:11] op_sel_hi:[1,0]
	s_nop 0
	v_pk_add_f32 v[16:17], v[2:3], v[6:7] op_sel:[0,1] op_sel_hi:[1,0] neg_lo:[0,1] neg_hi:[0,1]
	v_pk_add_f32 v[18:19], v[2:3], v[6:7] op_sel:[0,1] op_sel_hi:[1,0]
	v_pk_mul_f32 v[2:3], v[0:1], v[52:53] op_sel:[0,1]
	s_nop 0
	v_pk_fma_f32 v[26:27], v[0:1], v[52:53], v[2:3] op_sel:[0,0,1] op_sel_hi:[1,1,0] neg_lo:[0,0,1] neg_hi:[0,0,1]
	v_pk_fma_f32 v[0:1], v[0:1], v[52:53], v[2:3] op_sel:[0,0,1] op_sel_hi:[1,0,0]
	v_mov_b32_e32 v2, v55
	v_mov_b32_e32 v27, v1
	v_pk_mul_f32 v[0:1], v[4:5], v[2:3] op_sel_hi:[1,0]
	s_nop 0
	v_pk_fma_f32 v[30:31], v[4:5], v[54:55], v[0:1] op_sel:[0,0,1] op_sel_hi:[1,1,0] neg_lo:[0,0,1] neg_hi:[0,0,1]
	v_pk_fma_f32 v[0:1], v[4:5], v[54:55], v[0:1] op_sel:[0,0,1] op_sel_hi:[1,0,0]
	s_nop 0
	v_mov_b32_e32 v31, v1
	v_pk_add_f32 v[0:1], v[26:27], v[30:31]
	v_pk_add_f32 v[2:3], v[26:27], v[30:31] neg_lo:[0,1] neg_hi:[0,1]
	v_pk_fma_f32 v[0:1], v[0:1], 0.5, v[88:89] op_sel_hi:[1,0,1] neg_lo:[1,0,0] neg_hi:[1,0,0]
	v_pk_mul_f32 v[2:3], v[2:3], s[10:11] op_sel_hi:[1,0]
	s_nop 0
	v_pk_add_f32 v[24:25], v[0:1], v[2:3] op_sel:[0,1] op_sel_hi:[1,0] neg_lo:[0,1] neg_hi:[0,1]
	v_pk_add_f32 v[28:29], v[0:1], v[2:3] op_sel:[0,1] op_sel_hi:[1,0]
	ds_read2_b64 v[0:3], v175 offset0:42 offset1:177
	ds_read2_b64 v[4:7], v255 offset0:112 offset1:247
	;; [unrolled: 1-line block ×3, first 2 shown]
	s_waitcnt lgkmcnt(1)
	v_pk_mul_f32 v[12:13], v[6:7], v[64:65] op_sel:[0,1]
	s_nop 0
	v_pk_fma_f32 v[92:93], v[6:7], v[64:65], v[12:13] op_sel:[0,0,1] op_sel_hi:[1,1,0] neg_lo:[0,0,1] neg_hi:[0,0,1]
	v_pk_fma_f32 v[6:7], v[6:7], v[64:65], v[12:13] op_sel:[0,0,1] op_sel_hi:[1,0,0]
	v_mov_b32_e32 v12, v67
	v_mov_b32_e32 v93, v7
	s_waitcnt lgkmcnt(0)
	v_pk_mul_f32 v[6:7], v[10:11], v[12:13] op_sel_hi:[1,0]
	s_nop 0
	v_pk_fma_f32 v[76:77], v[10:11], v[66:67], v[6:7] op_sel:[0,0,1] op_sel_hi:[1,1,0] neg_lo:[0,0,1] neg_hi:[0,0,1]
	v_pk_fma_f32 v[6:7], v[10:11], v[66:67], v[6:7] op_sel:[0,0,1] op_sel_hi:[1,0,0]
	s_nop 0
	v_mov_b32_e32 v77, v7
	v_pk_add_f32 v[6:7], v[92:93], v[76:77]
	v_pk_add_f32 v[10:11], v[92:93], v[76:77] neg_lo:[0,1] neg_hi:[0,1]
	v_pk_fma_f32 v[6:7], v[6:7], 0.5, v[2:3] op_sel_hi:[1,0,1] neg_lo:[1,0,0] neg_hi:[1,0,0]
	v_pk_mul_f32 v[10:11], v[10:11], s[10:11] op_sel_hi:[1,0]
	s_nop 0
	v_pk_add_f32 v[32:33], v[6:7], v[10:11] op_sel:[0,1] op_sel_hi:[1,0] neg_lo:[0,1] neg_hi:[0,1]
	v_pk_add_f32 v[42:43], v[6:7], v[10:11] op_sel:[0,1] op_sel_hi:[1,0]
	v_pk_mul_f32 v[6:7], v[4:5], v[72:73] op_sel:[0,1]
	s_nop 0
	v_pk_fma_f32 v[94:95], v[4:5], v[72:73], v[6:7] op_sel:[0,0,1] op_sel_hi:[1,1,0] neg_lo:[0,0,1] neg_hi:[0,0,1]
	v_pk_fma_f32 v[4:5], v[4:5], v[72:73], v[6:7] op_sel:[0,0,1] op_sel_hi:[1,0,0]
	v_mov_b32_e32 v6, v75
	v_mov_b32_e32 v95, v5
	v_pk_mul_f32 v[4:5], v[8:9], v[6:7] op_sel_hi:[1,0]
	s_nop 0
	v_pk_fma_f32 v[100:101], v[8:9], v[74:75], v[4:5] op_sel:[0,0,1] op_sel_hi:[1,1,0] neg_lo:[0,0,1] neg_hi:[0,0,1]
	v_pk_fma_f32 v[4:5], v[8:9], v[74:75], v[4:5] op_sel:[0,0,1] op_sel_hi:[1,0,0]
	s_nop 0
	v_mov_b32_e32 v101, v5
	v_pk_add_f32 v[4:5], v[94:95], v[100:101]
	v_pk_add_f32 v[6:7], v[94:95], v[100:101] neg_lo:[0,1] neg_hi:[0,1]
	v_pk_fma_f32 v[4:5], v[4:5], 0.5, v[0:1] op_sel_hi:[1,0,1] neg_lo:[1,0,0] neg_hi:[1,0,0]
	v_pk_mul_f32 v[6:7], v[6:7], s[10:11] op_sel_hi:[1,0]
	v_pk_add_f32 v[0:1], v[0:1], v[94:95]
	v_pk_add_f32 v[96:97], v[4:5], v[6:7] op_sel:[0,1] op_sel_hi:[1,0] neg_lo:[0,1] neg_hi:[0,1]
	v_pk_add_f32 v[98:99], v[4:5], v[6:7] op_sel:[0,1] op_sel_hi:[1,0]
	ds_read2_b64 v[4:7], v176 offset0:28 offset1:163
	ds_read2_b64 v[8:11], v211 offset0:98 offset1:233
	;; [unrolled: 1-line block ×3, first 2 shown]
	v_pk_add_f32 v[0:1], v[0:1], v[100:101]
	s_waitcnt lgkmcnt(1)
	v_pk_mul_f32 v[34:35], v[10:11], v[68:69] op_sel:[0,1]
	s_nop 0
	v_pk_fma_f32 v[108:109], v[10:11], v[68:69], v[34:35] op_sel:[0,0,1] op_sel_hi:[1,1,0] neg_lo:[0,0,1] neg_hi:[0,0,1]
	v_pk_fma_f32 v[10:11], v[10:11], v[68:69], v[34:35] op_sel:[0,0,1] op_sel_hi:[1,0,0]
	v_mov_b32_e32 v34, v71
	v_mov_b32_e32 v109, v11
	s_waitcnt lgkmcnt(0)
	v_pk_mul_f32 v[10:11], v[14:15], v[34:35] op_sel_hi:[1,0]
	s_nop 0
	v_pk_fma_f32 v[106:107], v[14:15], v[70:71], v[10:11] op_sel:[0,0,1] op_sel_hi:[1,1,0] neg_lo:[0,0,1] neg_hi:[0,0,1]
	v_pk_fma_f32 v[10:11], v[14:15], v[70:71], v[10:11] op_sel:[0,0,1] op_sel_hi:[1,0,0]
	s_nop 0
	v_mov_b32_e32 v107, v11
	v_pk_add_f32 v[10:11], v[108:109], v[106:107]
	v_pk_add_f32 v[14:15], v[108:109], v[106:107] neg_lo:[0,1] neg_hi:[0,1]
	v_pk_fma_f32 v[10:11], v[10:11], 0.5, v[6:7] op_sel_hi:[1,0,1] neg_lo:[1,0,0] neg_hi:[1,0,0]
	v_pk_mul_f32 v[14:15], v[14:15], s[10:11] op_sel_hi:[1,0]
	s_nop 0
	v_pk_add_f32 v[102:103], v[10:11], v[14:15] op_sel:[0,1] op_sel_hi:[1,0] neg_lo:[0,1] neg_hi:[0,1]
	v_pk_add_f32 v[104:105], v[10:11], v[14:15] op_sel:[0,1] op_sel_hi:[1,0]
	v_pk_mul_f32 v[10:11], v[8:9], v[44:45] op_sel:[0,1]
	s_nop 0
	v_pk_fma_f32 v[110:111], v[8:9], v[44:45], v[10:11] op_sel:[0,0,1] op_sel_hi:[1,1,0] neg_lo:[0,0,1] neg_hi:[0,0,1]
	v_pk_fma_f32 v[8:9], v[8:9], v[44:45], v[10:11] op_sel:[0,0,1] op_sel_hi:[1,0,0]
	v_mov_b32_e32 v10, v47
	v_mov_b32_e32 v111, v9
	v_pk_mul_f32 v[8:9], v[12:13], v[10:11] op_sel_hi:[1,0]
	s_nop 0
	v_pk_fma_f32 v[116:117], v[12:13], v[46:47], v[8:9] op_sel:[0,0,1] op_sel_hi:[1,1,0] neg_lo:[0,0,1] neg_hi:[0,0,1]
	v_pk_fma_f32 v[8:9], v[12:13], v[46:47], v[8:9] op_sel:[0,0,1] op_sel_hi:[1,0,0]
	s_nop 0
	v_mov_b32_e32 v117, v9
	v_pk_add_f32 v[8:9], v[110:111], v[116:117]
	v_pk_add_f32 v[10:11], v[110:111], v[116:117] neg_lo:[0,1] neg_hi:[0,1]
	v_pk_fma_f32 v[8:9], v[8:9], 0.5, v[4:5] op_sel_hi:[1,0,1] neg_lo:[1,0,0] neg_hi:[1,0,0]
	v_pk_mul_f32 v[10:11], v[10:11], s[10:11] op_sel_hi:[1,0]
	v_pk_add_f32 v[4:5], v[4:5], v[110:111]
	v_pk_add_f32 v[112:113], v[8:9], v[10:11] op_sel:[0,1] op_sel_hi:[1,0] neg_lo:[0,1] neg_hi:[0,1]
	v_pk_add_f32 v[114:115], v[8:9], v[10:11] op_sel:[0,1] op_sel_hi:[1,0]
	ds_read2_b64 v[8:11], v179 offset0:14 offset1:149
	ds_read2_b64 v[12:15], v241 offset0:84 offset1:219
	ds_read2_b64 v[44:47], v240 offset0:26 offset1:161
	v_pk_add_f32 v[4:5], v[4:5], v[116:117]
	s_waitcnt lgkmcnt(1)
	v_pk_mul_f32 v[34:35], v[14:15], v[118:119] op_sel:[0,1]
	s_nop 0
	v_pk_fma_f32 v[124:125], v[14:15], v[118:119], v[34:35] op_sel:[0,0,1] op_sel_hi:[1,1,0] neg_lo:[0,0,1] neg_hi:[0,0,1]
	v_pk_fma_f32 v[14:15], v[14:15], v[118:119], v[34:35] op_sel:[0,0,1] op_sel_hi:[1,0,0]
	v_mov_b32_e32 v34, v121
	v_mov_b32_e32 v125, v15
	s_waitcnt lgkmcnt(0)
	v_pk_mul_f32 v[14:15], v[46:47], v[34:35] op_sel_hi:[1,0]
	s_nop 0
	v_pk_fma_f32 v[122:123], v[46:47], v[120:121], v[14:15] op_sel:[0,0,1] op_sel_hi:[1,1,0] neg_lo:[0,0,1] neg_hi:[0,0,1]
	v_pk_fma_f32 v[14:15], v[46:47], v[120:121], v[14:15] op_sel:[0,0,1] op_sel_hi:[1,0,0]
	s_nop 0
	v_mov_b32_e32 v123, v15
	v_pk_add_f32 v[14:15], v[124:125], v[122:123]
	v_pk_add_f32 v[34:35], v[124:125], v[122:123] neg_lo:[0,1] neg_hi:[0,1]
	v_pk_fma_f32 v[14:15], v[14:15], 0.5, v[10:11] op_sel_hi:[1,0,1] neg_lo:[1,0,0] neg_hi:[1,0,0]
	v_pk_mul_f32 v[34:35], v[34:35], s[10:11] op_sel_hi:[1,0]
	s_nop 0
	v_pk_add_f32 v[118:119], v[14:15], v[34:35] op_sel:[0,1] op_sel_hi:[1,0] neg_lo:[0,1] neg_hi:[0,1]
	v_pk_add_f32 v[120:121], v[14:15], v[34:35] op_sel:[0,1] op_sel_hi:[1,0]
	v_pk_mul_f32 v[14:15], v[12:13], v[136:137] op_sel:[0,1]
	s_nop 0
	v_pk_fma_f32 v[34:35], v[12:13], v[136:137], v[14:15] op_sel:[0,0,1] op_sel_hi:[1,1,0] neg_lo:[0,0,1] neg_hi:[0,0,1]
	v_pk_fma_f32 v[12:13], v[12:13], v[136:137], v[14:15] op_sel:[0,0,1] op_sel_hi:[1,0,0]
	v_mov_b32_e32 v14, v139
	v_mov_b32_e32 v35, v13
	v_pk_mul_f32 v[12:13], v[44:45], v[14:15] op_sel_hi:[1,0]
	s_nop 0
	v_pk_fma_f32 v[46:47], v[44:45], v[138:139], v[12:13] op_sel:[0,0,1] op_sel_hi:[1,1,0] neg_lo:[0,0,1] neg_hi:[0,0,1]
	v_pk_fma_f32 v[12:13], v[44:45], v[138:139], v[12:13] op_sel:[0,0,1] op_sel_hi:[1,0,0]
	s_nop 0
	v_mov_b32_e32 v47, v13
	v_pk_add_f32 v[12:13], v[34:35], v[46:47]
	v_pk_add_f32 v[14:15], v[34:35], v[46:47] neg_lo:[0,1] neg_hi:[0,1]
	v_pk_fma_f32 v[12:13], v[12:13], 0.5, v[8:9] op_sel_hi:[1,0,1] neg_lo:[1,0,0] neg_hi:[1,0,0]
	v_pk_mul_f32 v[14:15], v[14:15], s[10:11] op_sel_hi:[1,0]
	v_pk_add_f32 v[8:9], v[8:9], v[34:35]
	v_pk_add_f32 v[40:41], v[12:13], v[14:15] op_sel:[0,1] op_sel_hi:[1,0] neg_lo:[0,1] neg_hi:[0,1]
	v_pk_add_f32 v[44:45], v[12:13], v[14:15] op_sel:[0,1] op_sel_hi:[1,0]
	ds_read2_b64 v[12:15], v196 offset1:135
	ds_read2_b64 v[136:139], v254 offset0:70 offset1:205
	ds_read2_b64 v[144:147], v169 offset0:12 offset1:147
	s_waitcnt lgkmcnt(0)
	s_barrier
	v_pk_mul_f32 v[36:37], v[138:139], v[154:155] op_sel:[0,1]
	v_pk_add_f32 v[8:9], v[8:9], v[46:47]
	v_pk_fma_f32 v[38:39], v[138:139], v[154:155], v[36:37] op_sel:[0,0,1] op_sel_hi:[1,1,0] neg_lo:[0,0,1] neg_hi:[0,0,1]
	v_pk_fma_f32 v[36:37], v[138:139], v[154:155], v[36:37] op_sel:[0,0,1] op_sel_hi:[1,0,0]
	s_nop 0
	v_mov_b32_e32 v39, v37
	v_pk_mul_f32 v[36:37], v[146:147], v[130:131] op_sel_hi:[1,0]
	s_nop 0
	v_pk_fma_f32 v[130:131], v[146:147], v[156:157], v[36:37] op_sel:[0,0,1] op_sel_hi:[1,1,0] neg_lo:[0,0,1] neg_hi:[0,0,1]
	v_pk_fma_f32 v[36:37], v[146:147], v[156:157], v[36:37] op_sel:[0,0,1] op_sel_hi:[1,0,0]
	s_nop 0
	v_mov_b32_e32 v131, v37
	v_pk_add_f32 v[36:37], v[38:39], v[130:131]
	v_pk_add_f32 v[138:139], v[38:39], v[130:131] neg_lo:[0,1] neg_hi:[0,1]
	v_pk_fma_f32 v[36:37], v[36:37], 0.5, v[14:15] op_sel_hi:[1,0,1] neg_lo:[1,0,0] neg_hi:[1,0,0]
	v_pk_mul_f32 v[138:139], v[138:139], s[10:11] op_sel_hi:[1,0]
	s_nop 0
	v_pk_add_f32 v[140:141], v[36:37], v[138:139] op_sel:[0,1] op_sel_hi:[1,0] neg_lo:[0,1] neg_hi:[0,1]
	v_pk_add_f32 v[36:37], v[36:37], v[138:139] op_sel:[0,1] op_sel_hi:[1,0]
	v_pk_mul_f32 v[138:139], v[136:137], v[148:149] op_sel:[0,1]
	s_nop 0
	v_pk_fma_f32 v[146:147], v[136:137], v[148:149], v[138:139] op_sel:[0,0,1] op_sel_hi:[1,1,0] neg_lo:[0,0,1] neg_hi:[0,0,1]
	v_pk_fma_f32 v[136:137], v[136:137], v[148:149], v[138:139] op_sel:[0,0,1] op_sel_hi:[1,0,0]
	v_mov_b32_e32 v138, v151
	v_mov_b32_e32 v147, v137
	v_pk_mul_f32 v[136:137], v[144:145], v[138:139] op_sel_hi:[1,0]
	s_nop 0
	v_pk_fma_f32 v[138:139], v[144:145], v[150:151], v[136:137] op_sel:[0,0,1] op_sel_hi:[1,1,0] neg_lo:[0,0,1] neg_hi:[0,0,1]
	v_pk_fma_f32 v[136:137], v[144:145], v[150:151], v[136:137] op_sel:[0,0,1] op_sel_hi:[1,0,0]
	s_nop 0
	v_mov_b32_e32 v139, v137
	v_pk_add_f32 v[136:137], v[12:13], v[146:147]
	v_pk_add_f32 v[144:145], v[146:147], v[138:139]
	;; [unrolled: 1-line block ×3, first 2 shown]
	v_pk_add_f32 v[138:139], v[146:147], v[138:139] neg_lo:[0,1] neg_hi:[0,1]
	v_pk_fma_f32 v[12:13], v[144:145], 0.5, v[12:13] op_sel_hi:[1,0,1] neg_lo:[1,0,0] neg_hi:[1,0,0]
	v_pk_mul_f32 v[138:139], v[138:139], s[10:11] op_sel_hi:[1,0]
	s_nop 0
	v_pk_add_f32 v[144:145], v[12:13], v[138:139] op_sel:[0,1] op_sel_hi:[1,0]
	v_pk_add_f32 v[12:13], v[12:13], v[138:139] op_sel:[0,1] op_sel_hi:[1,0] neg_lo:[0,1] neg_hi:[0,1]
	v_mov_b32_e32 v138, v144
	v_mov_b32_e32 v139, v13
	v_mov_b32_e32 v13, v145
	ds_write_b64 v165, v[12:13] offset:800
	v_pk_add_f32 v[12:13], v[14:15], v[38:39]
	v_mov_b32_e32 v14, v36
	v_pk_add_f32 v[12:13], v[12:13], v[130:131]
	v_mov_b32_e32 v15, v141
	ds_write2_b64 v165, v[136:137], v[138:139] offset1:50
	ds_write2_b64 v164, v[12:13], v[14:15] offset1:50
	v_mov_b32_e32 v141, v37
	v_mov_b32_e32 v12, v44
	v_mov_b32_e32 v13, v41
	ds_write_b64 v164, v[140:141] offset:800
	ds_write2_b64 v163, v[8:9], v[12:13] offset1:50
	v_pk_add_f32 v[8:9], v[10:11], v[124:125]
	v_mov_b32_e32 v41, v45
	v_pk_add_f32 v[8:9], v[8:9], v[122:123]
	v_mov_b32_e32 v10, v120
	v_mov_b32_e32 v11, v119
	ds_write_b64 v163, v[40:41] offset:800
	ds_write2_b64 v162, v[8:9], v[10:11] offset1:50
	v_mov_b32_e32 v119, v121
	v_mov_b32_e32 v8, v114
	v_mov_b32_e32 v9, v113
	ds_write_b64 v162, v[118:119] offset:800
	ds_write2_b64 v161, v[4:5], v[8:9] offset1:50
	v_pk_add_f32 v[4:5], v[6:7], v[108:109]
	v_mov_b32_e32 v113, v115
	v_pk_add_f32 v[4:5], v[4:5], v[106:107]
	v_mov_b32_e32 v6, v104
	v_mov_b32_e32 v7, v103
	ds_write_b64 v161, v[112:113] offset:800
	ds_write2_b64 v160, v[4:5], v[6:7] offset1:50
	v_mov_b32_e32 v103, v105
	v_mov_b32_e32 v4, v98
	v_mov_b32_e32 v5, v97
	ds_write_b64 v160, v[102:103] offset:800
	ds_write2_b64 v159, v[0:1], v[4:5] offset1:50
	v_pk_add_f32 v[0:1], v[2:3], v[92:93]
	v_mov_b32_e32 v97, v99
	v_pk_add_f32 v[0:1], v[0:1], v[76:77]
	v_mov_b32_e32 v2, v42
	v_mov_b32_e32 v3, v33
	ds_write_b64 v159, v[96:97] offset:800
	ds_write2_b64 v158, v[0:1], v[2:3] offset1:50
	v_pk_add_f32 v[0:1], v[88:89], v[26:27]
	v_mov_b32_e32 v33, v43
	v_pk_add_f32 v[0:1], v[0:1], v[30:31]
	v_mov_b32_e32 v2, v28
	v_mov_b32_e32 v3, v25
	ds_write_b64 v158, v[32:33] offset:800
	ds_write2_b64 v153, v[0:1], v[2:3] offset1:50
	v_pk_add_f32 v[0:1], v[90:91], v[22:23]
	v_mov_b32_e32 v25, v29
	v_pk_add_f32 v[0:1], v[0:1], v[20:21]
	v_mov_b32_e32 v2, v18
	v_mov_b32_e32 v3, v17
	ds_write_b64 v153, v[24:25] offset:800
	ds_write2_b64 v152, v[0:1], v[2:3] offset1:50
	v_lshl_add_u64 v[0:1], v[80:81], 0, -15
	v_cndmask_b32_e32 v1, v1, v83, vcc
	v_cndmask_b32_e32 v0, v0, v82, vcc
	v_lshl_add_u64 v[2:3], v[0:1], 4, s[6:7]
	v_mul_u32_u24_e32 v1, 0xda75, v51
	v_mov_b32_e32 v17, v19
	v_lshlrev_b32_e32 v24, 4, v80
	v_lshrrev_b32_e32 v1, 22, v1
	ds_write_b64 v152, v[16:17] offset:800
	s_waitcnt lgkmcnt(0)
	s_barrier
	global_load_dwordx4 v[116:119], v24, s[6:7] offset:1120
	global_load_dwordx4 v[96:99], v[2:3], off offset:1120
	v_mul_lo_u16_e32 v2, 0x96, v1
	v_sub_u16_e32 v16, v134, v2
	v_lshlrev_b16_e32 v2, 4, v16
	v_mov_b32_e32 v3, v197
	v_lshl_add_u64 v[2:3], s[6:7], 0, v[2:3]
	global_load_dwordx4 v[100:103], v[2:3], off offset:1120
	v_mul_u32_u24_e32 v2, 0xda75, v59
	v_lshrrev_b32_e32 v17, 22, v2
	v_mul_lo_u16_e32 v2, 0x96, v17
	v_sub_u16_e32 v18, v132, v2
	v_lshlrev_b16_e32 v2, 4, v18
	v_mov_b32_e32 v3, v197
	v_lshl_add_u64 v[2:3], s[6:7], 0, v[2:3]
	global_load_dwordx4 v[36:39], v[2:3], off offset:1120
	v_mul_u32_u24_e32 v2, 0xda75, v78
	v_lshrrev_b32_e32 v19, 22, v2
	;; [unrolled: 8-line block ×4, first 2 shown]
	v_mov_b32_e32 v25, v197
	v_mul_lo_u16_e32 v2, 0x96, v23
	v_lshl_add_u64 v[26:27], s[6:7], 0, v[24:25]
	v_sub_u16_e32 v25, v170, v2
	v_lshlrev_b16_e32 v2, 4, v25
	v_mov_b32_e32 v3, v197
	v_lshl_add_u64 v[2:3], s[6:7], 0, v[2:3]
	global_load_dwordx4 v[88:91], v[2:3], off offset:1120
	v_mul_u32_u24_e32 v2, 0xda75, v85
	v_lshrrev_b32_e32 v28, 22, v2
	v_mul_lo_u16_e32 v2, 0x96, v28
	v_sub_u16_e32 v29, v174, v2
	v_lshlrev_b16_e32 v2, 4, v29
	v_mov_b32_e32 v3, v197
	v_lshl_add_u64 v[2:3], s[6:7], 0, v[2:3]
	global_load_dwordx4 v[112:115], v[2:3], off offset:1120
	v_mul_u32_u24_e32 v2, 0xda75, v128
	v_lshrrev_b32_e32 v30, 22, v2
	v_mul_lo_u16_e32 v2, 0x96, v30
	;; [unrolled: 8-line block ×3, first 2 shown]
	v_sub_u16_e32 v32, v168, v2
	v_lshlrev_b16_e32 v2, 4, v32
	v_mov_b32_e32 v3, v197
	v_lshl_add_u64 v[2:3], s[6:7], 0, v[2:3]
	global_load_dwordx4 v[44:47], v[2:3], off offset:1120
	ds_read2_b64 v[4:7], v196 offset1:135
	ds_read2_b64 v[12:15], v254 offset0:70 offset1:205
	ds_read2_b64 v[8:11], v169 offset0:12 offset1:147
	v_cmp_lt_u16_e32 vcc, 14, v80
	s_waitcnt vmcnt(9) lgkmcnt(1)
	v_pk_mul_f32 v[2:3], v[12:13], v[116:117] op_sel:[0,1]
	s_nop 0
	v_pk_fma_f32 v[146:147], v[12:13], v[116:117], v[2:3] op_sel:[0,0,1] op_sel_hi:[1,1,0] neg_lo:[0,0,1] neg_hi:[0,0,1]
	v_pk_fma_f32 v[2:3], v[12:13], v[116:117], v[2:3] op_sel:[0,0,1] op_sel_hi:[1,0,0]
	v_mov_b32_e32 v12, v119
	v_mov_b32_e32 v147, v3
	s_waitcnt lgkmcnt(0)
	v_pk_mul_f32 v[2:3], v[8:9], v[12:13] op_sel_hi:[1,0]
	s_waitcnt vmcnt(8)
	v_accvgpr_write_b32 a212, v98
	v_pk_fma_f32 v[148:149], v[8:9], v[118:119], v[2:3] op_sel:[0,0,1] op_sel_hi:[1,1,0] neg_lo:[0,0,1] neg_hi:[0,0,1]
	v_pk_fma_f32 v[2:3], v[8:9], v[118:119], v[2:3] op_sel:[0,0,1] op_sel_hi:[1,0,0]
	s_waitcnt vmcnt(7)
	v_accvgpr_write_b32 a206, v102
	v_mov_b32_e32 v149, v3
	v_pk_add_f32 v[2:3], v[4:5], v[146:147]
	v_accvgpr_write_b32 a208, v103
	v_pk_add_f32 v[40:41], v[2:3], v[148:149]
	v_mov_b32_e32 v2, 0x1c2
	v_cndmask_b32_e32 v2, 0, v2, vcc
	v_add_lshl_u32 v83, v0, v2, 3
	v_mad_legacy_u16 v0, v1, s5, v16
	v_lshlrev_b32_e32 v75, 3, v0
	v_mad_legacy_u16 v0, v17, s5, v18
	v_lshlrev_b32_e32 v71, 3, v0
	;; [unrolled: 2-line block ×7, first 2 shown]
	ds_read2_b64 v[128:131], v173 offset0:56 offset1:191
	ds_read2_b64 v[0:3], v171 offset0:62 offset1:197
	;; [unrolled: 1-line block ×3, first 2 shown]
	v_lshlrev_b32_e32 v25, 3, v32
	s_waitcnt vmcnt(5)
	v_accvgpr_write_b32 a194, v94
	v_accvgpr_write_b32 a196, v95
	;; [unrolled: 1-line block ×4, first 2 shown]
	v_mov_b32_e32 v84, v39
	v_accvgpr_write_b32 a200, v38
	v_accvgpr_write_b32 a199, v37
	;; [unrolled: 1-line block ×3, first 2 shown]
	s_waitcnt vmcnt(3)
	v_accvgpr_write_b32 a182, v90
	v_accvgpr_write_b32 a184, v91
	;; [unrolled: 1-line block ×5, first 2 shown]
	v_cmp_gt_u16_e32 vcc, 45, v80
	v_accvgpr_write_b32 a188, v106
	v_accvgpr_write_b32 a190, v107
	v_accvgpr_write_b32 a187, v105
	v_accvgpr_write_b32 a186, v104
	v_accvgpr_write_b32 a131, v25
	v_accvgpr_write_b32 a97, v83
	v_accvgpr_write_b32 a205, v101
	v_accvgpr_write_b32 a204, v100
	v_accvgpr_write_b32 a214, v99
	v_accvgpr_write_b32 a211, v97
	s_waitcnt vmcnt(1)
	v_accvgpr_write_b32 a176, v123
	v_accvgpr_write_b32 a210, v96
	;; [unrolled: 1-line block ×3, first 2 shown]
	v_mov_b32_e32 v119, v211
	v_accvgpr_write_b32 a93, v71
	v_accvgpr_write_b32 a87, v55
	;; [unrolled: 1-line block ×4, first 2 shown]
	s_waitcnt vmcnt(0) lgkmcnt(1)
	v_pk_mul_f32 v[8:9], v[2:3], v[44:45] op_sel:[0,1]
	v_accvgpr_write_b32 a174, v47
	v_pk_fma_f32 v[30:31], v[2:3], v[44:45], v[8:9] op_sel:[0,0,1] op_sel_hi:[1,1,0] neg_lo:[0,0,1] neg_hi:[0,0,1]
	v_pk_fma_f32 v[2:3], v[2:3], v[44:45], v[8:9] op_sel:[0,0,1] op_sel_hi:[1,0,0]
	v_mov_b32_e32 v8, v47
	v_mov_b32_e32 v31, v3
	s_waitcnt lgkmcnt(0)
	v_pk_mul_f32 v[2:3], v[18:19], v[8:9] op_sel_hi:[1,0]
	v_accvgpr_write_b32 a91, v63
	v_pk_fma_f32 v[28:29], v[18:19], v[46:47], v[2:3] op_sel:[0,0,1] op_sel_hi:[1,1,0] neg_lo:[0,0,1] neg_hi:[0,0,1]
	v_pk_fma_f32 v[2:3], v[18:19], v[46:47], v[2:3] op_sel:[0,0,1] op_sel_hi:[1,0,0]
	v_accvgpr_write_b32 a127, v67
	v_mov_b32_e32 v29, v3
	v_pk_add_f32 v[2:3], v[30:31], v[28:29]
	v_pk_add_f32 v[8:9], v[30:31], v[28:29] neg_lo:[0,1] neg_hi:[0,1]
	v_pk_fma_f32 v[2:3], v[2:3], 0.5, v[130:131] op_sel_hi:[1,0,1] neg_lo:[1,0,0] neg_hi:[1,0,0]
	v_pk_mul_f32 v[12:13], v[8:9], s[10:11] op_sel_hi:[1,0]
	v_accvgpr_write_b32 a123, v75
	v_pk_add_f32 v[8:9], v[2:3], v[12:13] op_sel:[0,1] op_sel_hi:[1,0] neg_lo:[0,1] neg_hi:[0,1]
	v_pk_add_f32 v[12:13], v[2:3], v[12:13] op_sel:[0,1] op_sel_hi:[1,0]
	v_pk_mul_f32 v[2:3], v[0:1], v[120:121] op_sel:[0,1]
	s_nop 0
	v_pk_fma_f32 v[32:33], v[0:1], v[120:121], v[2:3] op_sel:[0,0,1] op_sel_hi:[1,1,0] neg_lo:[0,0,1] neg_hi:[0,0,1]
	v_pk_fma_f32 v[0:1], v[0:1], v[120:121], v[2:3] op_sel:[0,0,1] op_sel_hi:[1,0,0]
	v_mov_b32_e32 v2, v123
	v_mov_b32_e32 v33, v1
	v_pk_mul_f32 v[0:1], v[16:17], v[2:3] op_sel_hi:[1,0]
	s_nop 0
	v_pk_fma_f32 v[136:137], v[16:17], v[122:123], v[0:1] op_sel:[0,0,1] op_sel_hi:[1,1,0] neg_lo:[0,0,1] neg_hi:[0,0,1]
	v_pk_fma_f32 v[0:1], v[16:17], v[122:123], v[0:1] op_sel:[0,0,1] op_sel_hi:[1,0,0]
	s_nop 0
	v_mov_b32_e32 v137, v1
	v_pk_add_f32 v[0:1], v[32:33], v[136:137]
	v_pk_add_f32 v[2:3], v[32:33], v[136:137] neg_lo:[0,1] neg_hi:[0,1]
	v_pk_fma_f32 v[0:1], v[0:1], 0.5, v[128:129] op_sel_hi:[1,0,1] neg_lo:[1,0,0] neg_hi:[1,0,0]
	v_pk_mul_f32 v[2:3], v[2:3], s[10:11] op_sel_hi:[1,0]
	s_nop 0
	v_pk_add_f32 v[42:43], v[0:1], v[2:3] op_sel:[0,1] op_sel_hi:[1,0] neg_lo:[0,1] neg_hi:[0,1]
	v_pk_add_f32 v[76:77], v[0:1], v[2:3] op_sel:[0,1] op_sel_hi:[1,0]
	ds_read2_b64 v[0:3], v175 offset0:42 offset1:177
	ds_read2_b64 v[16:19], v255 offset0:112 offset1:247
	ds_read2_b64 v[20:23], v143 offset0:54 offset1:189
	s_waitcnt lgkmcnt(1)
	v_pk_mul_f32 v[34:35], v[18:19], v[112:113] op_sel:[0,1]
	s_nop 0
	v_pk_fma_f32 v[150:151], v[18:19], v[112:113], v[34:35] op_sel:[0,0,1] op_sel_hi:[1,1,0] neg_lo:[0,0,1] neg_hi:[0,0,1]
	v_pk_fma_f32 v[18:19], v[18:19], v[112:113], v[34:35] op_sel:[0,0,1] op_sel_hi:[1,0,0]
	v_mov_b32_e32 v34, v115
	v_mov_b32_e32 v151, v19
	s_waitcnt lgkmcnt(0)
	v_pk_mul_f32 v[18:19], v[22:23], v[34:35] op_sel_hi:[1,0]
	s_nop 0
	v_pk_fma_f32 v[144:145], v[22:23], v[114:115], v[18:19] op_sel:[0,0,1] op_sel_hi:[1,1,0] neg_lo:[0,0,1] neg_hi:[0,0,1]
	v_pk_fma_f32 v[18:19], v[22:23], v[114:115], v[18:19] op_sel:[0,0,1] op_sel_hi:[1,0,0]
	v_mov_b32_e32 v115, v51
	v_mov_b32_e32 v145, v19
	v_pk_add_f32 v[18:19], v[150:151], v[144:145]
	v_pk_add_f32 v[22:23], v[150:151], v[144:145] neg_lo:[0,1] neg_hi:[0,1]
	v_pk_fma_f32 v[18:19], v[18:19], 0.5, v[2:3] op_sel_hi:[1,0,1] neg_lo:[1,0,0] neg_hi:[1,0,0]
	v_pk_mul_f32 v[22:23], v[22:23], s[10:11] op_sel_hi:[1,0]
	s_nop 0
	v_pk_add_f32 v[138:139], v[18:19], v[22:23] op_sel:[0,1] op_sel_hi:[1,0] neg_lo:[0,1] neg_hi:[0,1]
	v_pk_add_f32 v[140:141], v[18:19], v[22:23] op_sel:[0,1] op_sel_hi:[1,0]
	v_pk_mul_f32 v[18:19], v[16:17], v[88:89] op_sel:[0,1]
	s_nop 0
	v_pk_fma_f32 v[152:153], v[16:17], v[88:89], v[18:19] op_sel:[0,0,1] op_sel_hi:[1,1,0] neg_lo:[0,0,1] neg_hi:[0,0,1]
	v_pk_fma_f32 v[16:17], v[16:17], v[88:89], v[18:19] op_sel:[0,0,1] op_sel_hi:[1,0,0]
	v_mov_b32_e32 v18, v91
	v_mov_b32_e32 v153, v17
	v_pk_mul_f32 v[16:17], v[20:21], v[18:19] op_sel_hi:[1,0]
	s_nop 0
	v_pk_fma_f32 v[158:159], v[20:21], v[90:91], v[16:17] op_sel:[0,0,1] op_sel_hi:[1,1,0] neg_lo:[0,0,1] neg_hi:[0,0,1]
	v_pk_fma_f32 v[16:17], v[20:21], v[90:91], v[16:17] op_sel:[0,0,1] op_sel_hi:[1,0,0]
	s_nop 0
	v_mov_b32_e32 v159, v17
	v_pk_add_f32 v[16:17], v[152:153], v[158:159]
	v_pk_add_f32 v[18:19], v[152:153], v[158:159] neg_lo:[0,1] neg_hi:[0,1]
	v_pk_fma_f32 v[16:17], v[16:17], 0.5, v[0:1] op_sel_hi:[1,0,1] neg_lo:[1,0,0] neg_hi:[1,0,0]
	v_pk_mul_f32 v[18:19], v[18:19], s[10:11] op_sel_hi:[1,0]
	v_pk_add_f32 v[0:1], v[0:1], v[152:153]
	v_pk_add_f32 v[154:155], v[16:17], v[18:19] op_sel:[0,1] op_sel_hi:[1,0] neg_lo:[0,1] neg_hi:[0,1]
	v_pk_add_f32 v[156:157], v[16:17], v[18:19] op_sel:[0,1] op_sel_hi:[1,0]
	ds_read2_b64 v[16:19], v176 offset0:28 offset1:163
	ds_read2_b64 v[20:23], v211 offset0:98 offset1:233
	;; [unrolled: 1-line block ×3, first 2 shown]
	v_pk_add_f32 v[0:1], v[0:1], v[158:159]
	s_waitcnt lgkmcnt(1)
	v_pk_mul_f32 v[34:35], v[22:23], v[104:105] op_sel:[0,1]
	s_nop 0
	v_pk_fma_f32 v[166:167], v[22:23], v[104:105], v[34:35] op_sel:[0,0,1] op_sel_hi:[1,1,0] neg_lo:[0,0,1] neg_hi:[0,0,1]
	v_pk_fma_f32 v[22:23], v[22:23], v[104:105], v[34:35] op_sel:[0,0,1] op_sel_hi:[1,0,0]
	v_mov_b32_e32 v34, v107
	v_mov_b32_e32 v167, v23
	s_waitcnt lgkmcnt(0)
	v_pk_mul_f32 v[22:23], v[90:91], v[34:35] op_sel_hi:[1,0]
	s_nop 0
	v_pk_fma_f32 v[164:165], v[90:91], v[106:107], v[22:23] op_sel:[0,0,1] op_sel_hi:[1,1,0] neg_lo:[0,0,1] neg_hi:[0,0,1]
	v_pk_fma_f32 v[22:23], v[90:91], v[106:107], v[22:23] op_sel:[0,0,1] op_sel_hi:[1,0,0]
	s_nop 0
	v_mov_b32_e32 v165, v23
	v_pk_add_f32 v[22:23], v[166:167], v[164:165]
	v_pk_add_f32 v[34:35], v[166:167], v[164:165] neg_lo:[0,1] neg_hi:[0,1]
	v_pk_fma_f32 v[22:23], v[22:23], 0.5, v[18:19] op_sel_hi:[1,0,1] neg_lo:[1,0,0] neg_hi:[1,0,0]
	v_pk_mul_f32 v[34:35], v[34:35], s[10:11] op_sel_hi:[1,0]
	s_nop 0
	v_pk_add_f32 v[160:161], v[22:23], v[34:35] op_sel:[0,1] op_sel_hi:[1,0] neg_lo:[0,1] neg_hi:[0,1]
	v_pk_add_f32 v[162:163], v[22:23], v[34:35] op_sel:[0,1] op_sel_hi:[1,0]
	v_pk_mul_f32 v[22:23], v[20:21], v[92:93] op_sel:[0,1]
	s_nop 0
	v_pk_fma_f32 v[180:181], v[20:21], v[92:93], v[22:23] op_sel:[0,0,1] op_sel_hi:[1,1,0] neg_lo:[0,0,1] neg_hi:[0,0,1]
	v_pk_fma_f32 v[20:21], v[20:21], v[92:93], v[22:23] op_sel:[0,0,1] op_sel_hi:[1,0,0]
	v_mov_b32_e32 v22, v95
	v_mov_b32_e32 v181, v21
	v_pk_mul_f32 v[20:21], v[88:89], v[22:23] op_sel_hi:[1,0]
	s_nop 0
	v_pk_fma_f32 v[186:187], v[88:89], v[94:95], v[20:21] op_sel:[0,0,1] op_sel_hi:[1,1,0] neg_lo:[0,0,1] neg_hi:[0,0,1]
	v_pk_fma_f32 v[20:21], v[88:89], v[94:95], v[20:21] op_sel:[0,0,1] op_sel_hi:[1,0,0]
	s_nop 0
	v_mov_b32_e32 v187, v21
	v_pk_add_f32 v[20:21], v[180:181], v[186:187]
	v_pk_add_f32 v[22:23], v[180:181], v[186:187] neg_lo:[0,1] neg_hi:[0,1]
	v_pk_fma_f32 v[20:21], v[20:21], 0.5, v[16:17] op_sel_hi:[1,0,1] neg_lo:[1,0,0] neg_hi:[1,0,0]
	v_pk_mul_f32 v[22:23], v[22:23], s[10:11] op_sel_hi:[1,0]
	s_nop 0
	v_pk_add_f32 v[182:183], v[20:21], v[22:23] op_sel:[0,1] op_sel_hi:[1,0] neg_lo:[0,1] neg_hi:[0,1]
	v_pk_add_f32 v[184:185], v[20:21], v[22:23] op_sel:[0,1] op_sel_hi:[1,0]
	ds_read2_b64 v[20:23], v179 offset0:14 offset1:149
	ds_read2_b64 v[88:91], v241 offset0:84 offset1:219
	;; [unrolled: 1-line block ×3, first 2 shown]
	s_waitcnt lgkmcnt(0)
	s_barrier
	v_pk_mul_f32 v[34:35], v[90:91], v[36:37] op_sel:[0,1]
	s_nop 0
	v_pk_fma_f32 v[78:79], v[90:91], v[36:37], v[34:35] op_sel:[0,0,1] op_sel_hi:[1,1,0] neg_lo:[0,0,1] neg_hi:[0,0,1]
	v_pk_fma_f32 v[34:35], v[90:91], v[36:37], v[34:35] op_sel:[0,0,1] op_sel_hi:[1,0,0]
	s_nop 0
	v_mov_b32_e32 v79, v35
	v_pk_mul_f32 v[34:35], v[94:95], v[84:85] op_sel_hi:[1,0]
	s_nop 0
	v_pk_fma_f32 v[192:193], v[94:95], v[38:39], v[34:35] op_sel:[0,0,1] op_sel_hi:[1,1,0] neg_lo:[0,0,1] neg_hi:[0,0,1]
	v_pk_fma_f32 v[34:35], v[94:95], v[38:39], v[34:35] op_sel:[0,0,1] op_sel_hi:[1,0,0]
	v_mov_b32_e32 v38, v103
	v_mov_b32_e32 v193, v35
	v_pk_add_f32 v[34:35], v[78:79], v[192:193]
	v_pk_add_f32 v[36:37], v[78:79], v[192:193] neg_lo:[0,1] neg_hi:[0,1]
	v_pk_fma_f32 v[34:35], v[34:35], 0.5, v[22:23] op_sel_hi:[1,0,1] neg_lo:[1,0,0] neg_hi:[1,0,0]
	v_pk_mul_f32 v[36:37], v[36:37], s[10:11] op_sel_hi:[1,0]
	s_nop 0
	v_pk_add_f32 v[188:189], v[34:35], v[36:37] op_sel:[0,1] op_sel_hi:[1,0] neg_lo:[0,1] neg_hi:[0,1]
	v_pk_add_f32 v[190:191], v[34:35], v[36:37] op_sel:[0,1] op_sel_hi:[1,0]
	v_pk_mul_f32 v[36:37], v[88:89], v[100:101] op_sel:[0,1]
	s_nop 0
	v_pk_fma_f32 v[34:35], v[88:89], v[100:101], v[36:37] op_sel:[0,0,1] op_sel_hi:[1,1,0] neg_lo:[0,0,1] neg_hi:[0,0,1]
	v_pk_fma_f32 v[36:37], v[88:89], v[100:101], v[36:37] op_sel:[0,0,1] op_sel_hi:[1,0,0]
	s_nop 0
	v_mov_b32_e32 v35, v37
	v_pk_mul_f32 v[36:37], v[92:93], v[38:39] op_sel_hi:[1,0]
	s_nop 0
	v_pk_fma_f32 v[38:39], v[92:93], v[102:103], v[36:37] op_sel:[0,0,1] op_sel_hi:[1,1,0] neg_lo:[0,0,1] neg_hi:[0,0,1]
	v_pk_fma_f32 v[36:37], v[92:93], v[102:103], v[36:37] op_sel:[0,0,1] op_sel_hi:[1,0,0]
	s_nop 0
	v_mov_b32_e32 v39, v37
	v_pk_add_f32 v[36:37], v[34:35], v[38:39]
	v_pk_add_f32 v[84:85], v[34:35], v[38:39] neg_lo:[0,1] neg_hi:[0,1]
	v_pk_fma_f32 v[36:37], v[36:37], 0.5, v[20:21] op_sel_hi:[1,0,1] neg_lo:[1,0,0] neg_hi:[1,0,0]
	v_pk_mul_f32 v[84:85], v[84:85], s[10:11] op_sel_hi:[1,0]
	s_nop 0
	v_pk_add_f32 v[88:89], v[36:37], v[84:85] op_sel:[0,1] op_sel_hi:[1,0] neg_lo:[0,1] neg_hi:[0,1]
	v_pk_add_f32 v[36:37], v[36:37], v[84:85] op_sel:[0,1] op_sel_hi:[1,0]
	v_pk_mul_f32 v[84:85], v[14:15], v[96:97] op_sel:[0,1]
	s_nop 0
	v_pk_fma_f32 v[90:91], v[14:15], v[96:97], v[84:85] op_sel:[0,0,1] op_sel_hi:[1,1,0] neg_lo:[0,0,1] neg_hi:[0,0,1]
	v_pk_fma_f32 v[14:15], v[14:15], v[96:97], v[84:85] op_sel:[0,0,1] op_sel_hi:[1,0,0]
	v_mov_b32_e32 v84, v99
	v_mov_b32_e32 v91, v15
	v_pk_mul_f32 v[14:15], v[10:11], v[84:85] op_sel_hi:[1,0]
	s_nop 0
	v_pk_fma_f32 v[84:85], v[10:11], v[98:99], v[14:15] op_sel:[0,0,1] op_sel_hi:[1,1,0] neg_lo:[0,0,1] neg_hi:[0,0,1]
	v_pk_fma_f32 v[10:11], v[10:11], v[98:99], v[14:15] op_sel:[0,0,1] op_sel_hi:[1,0,0]
	v_pk_add_f32 v[14:15], v[146:147], v[148:149]
	v_mov_b32_e32 v85, v11
	v_pk_fma_f32 v[4:5], v[14:15], 0.5, v[4:5] op_sel_hi:[1,0,1] neg_lo:[1,0,0] neg_hi:[1,0,0]
	v_pk_add_f32 v[14:15], v[146:147], v[148:149] neg_lo:[0,1] neg_hi:[0,1]
	v_pk_add_f32 v[10:11], v[6:7], v[90:91]
	v_pk_mul_f32 v[14:15], v[14:15], s[10:11] op_sel_hi:[1,0]
	v_pk_add_f32 v[10:11], v[10:11], v[84:85]
	v_pk_add_f32 v[92:93], v[4:5], v[14:15] op_sel:[0,1] op_sel_hi:[1,0] neg_lo:[0,1] neg_hi:[0,1]
	v_pk_add_f32 v[4:5], v[4:5], v[14:15] op_sel:[0,1] op_sel_hi:[1,0]
	v_mov_b32_e32 v15, v93
	v_mov_b32_e32 v14, v4
	;; [unrolled: 1-line block ×3, first 2 shown]
	v_pk_add_f32 v[4:5], v[90:91], v[84:85]
	ds_write2_b64 v196, v[40:41], v[14:15] offset1:150
	v_pk_fma_f32 v[4:5], v[4:5], 0.5, v[6:7] op_sel_hi:[1,0,1] neg_lo:[1,0,0] neg_hi:[1,0,0]
	v_pk_add_f32 v[6:7], v[90:91], v[84:85] neg_lo:[0,1] neg_hi:[0,1]
	ds_write_b64 v196, v[92:93] offset:2400
	v_pk_mul_f32 v[6:7], v[6:7], s[10:11] op_sel_hi:[1,0]
	s_mov_b32 s11, 0x91a3
	v_pk_add_f32 v[14:15], v[4:5], v[6:7] op_sel:[0,1] op_sel_hi:[1,0]
	v_pk_add_f32 v[4:5], v[4:5], v[6:7] op_sel:[0,1] op_sel_hi:[1,0] neg_lo:[0,1] neg_hi:[0,1]
	v_mov_b32_e32 v6, v14
	v_mov_b32_e32 v7, v5
	;; [unrolled: 1-line block ×3, first 2 shown]
	ds_write_b64 v83, v[4:5] offset:2400
	v_pk_add_f32 v[4:5], v[20:21], v[34:35]
	ds_write2_b64 v83, v[10:11], v[6:7] offset1:150
	v_pk_add_f32 v[4:5], v[4:5], v[38:39]
	v_mov_b32_e32 v6, v36
	v_mov_b32_e32 v7, v89
	ds_write2_b64 v75, v[4:5], v[6:7] offset1:150
	v_pk_add_f32 v[4:5], v[22:23], v[78:79]
	v_mov_b32_e32 v89, v37
	v_pk_add_f32 v[4:5], v[4:5], v[192:193]
	v_mov_b32_e32 v6, v190
	v_mov_b32_e32 v7, v189
	ds_write_b64 v75, v[88:89] offset:2400
	ds_write2_b64 v71, v[4:5], v[6:7] offset1:150
	v_pk_add_f32 v[4:5], v[16:17], v[180:181]
	v_mov_b32_e32 v189, v191
	v_pk_add_f32 v[4:5], v[4:5], v[186:187]
	v_mov_b32_e32 v6, v184
	v_mov_b32_e32 v7, v183
	ds_write_b64 v71, v[188:189] offset:2400
	;; [unrolled: 7-line block ×3, first 2 shown]
	ds_write2_b64 v63, v[4:5], v[6:7] offset1:150
	v_mov_b32_e32 v161, v163
	v_mov_b32_e32 v4, v156
	;; [unrolled: 1-line block ×3, first 2 shown]
	ds_write_b64 v63, v[160:161] offset:2400
	ds_write2_b64 v59, v[0:1], v[4:5] offset1:150
	v_pk_add_f32 v[0:1], v[2:3], v[150:151]
	v_mov_b32_e32 v155, v157
	v_pk_add_f32 v[0:1], v[0:1], v[144:145]
	v_mov_b32_e32 v2, v140
	v_mov_b32_e32 v3, v139
	ds_write_b64 v59, v[154:155] offset:2400
	ds_write2_b64 v55, v[0:1], v[2:3] offset1:150
	v_pk_add_f32 v[0:1], v[128:129], v[32:33]
	v_mov_b32_e32 v139, v141
	v_pk_add_f32 v[0:1], v[0:1], v[136:137]
	v_mov_b32_e32 v2, v76
	v_mov_b32_e32 v3, v43
	;; [unrolled: 7-line block ×3, first 2 shown]
	v_add_u32_e32 v4, 0x7000, v25
	ds_write_b64 v51, v[42:43] offset:2400
	ds_write2_b64 v4, v[0:1], v[2:3] offset0:16 offset1:166
	v_mov_b32_e32 v9, v13
	v_lshlrev_b32_e32 v0, 4, v82
	v_mov_b32_e32 v1, v197
	ds_write_b64 v25, v[8:9] offset:31200
	s_waitcnt lgkmcnt(0)
	s_barrier
	global_load_dwordx4 v[164:167], v24, s[6:7] offset:3520
	global_load_dwordx4 v[160:163], v0, s[6:7] offset:3520
	v_lshl_add_u64 v[28:29], s[6:7], 0, v[0:1]
	v_lshlrev_b32_e32 v0, 4, v134
	v_lshl_add_u64 v[30:31], s[6:7], 0, v[0:1]
	global_load_dwordx4 v[156:159], v0, s[6:7] offset:3520
	v_lshl_add_u64 v[0:1], v[80:81], 0, s[18:19]
	v_cndmask_b32_e32 v1, v1, v133, vcc
	v_cndmask_b32_e32 v0, v0, v132, vcc
	v_lshl_add_u64 v[2:3], v[0:1], 4, s[6:7]
	global_load_dwordx4 v[128:131], v[2:3], off offset:3520
	v_add_co_u32_e32 v2, vcc, s13, v26
	v_mul_u32_u24_sdwa v1, v170, s11 dst_sel:DWORD dst_unused:UNUSED_PAD src0_sel:WORD_0 src1_sel:DWORD
	s_nop 0
	v_addc_co_u32_e32 v3, vcc, 0, v27, vcc
	v_lshrrev_b32_e32 v1, 24, v1
	global_load_dwordx4 v[108:111], v[2:3], off offset:864
	global_load_dwordx4 v[136:139], v[2:3], off offset:3024
	v_mul_lo_u16_e32 v2, 0x1c2, v1
	v_sub_u16_e32 v22, v170, v2
	v_lshlrev_b16_e32 v2, 4, v22
	v_mov_b32_e32 v3, v197
	v_lshl_add_u64 v[2:3], s[6:7], 0, v[2:3]
	global_load_dwordx4 v[104:107], v[2:3], off offset:3520
	v_mul_u32_u24_sdwa v2, v174, s11 dst_sel:DWORD dst_unused:UNUSED_PAD src0_sel:WORD_0 src1_sel:DWORD
	v_mul_lo_u16_sdwa v2, v2, s5 dst_sel:DWORD dst_unused:UNUSED_PAD src0_sel:BYTE_3 src1_sel:DWORD
	v_sub_u16_e32 v23, v174, v2
	v_lshlrev_b16_e32 v2, 4, v23
	v_mov_b32_e32 v3, v197
	v_lshl_add_u64 v[2:3], s[6:7], 0, v[2:3]
	global_load_dwordx4 v[144:147], v[2:3], off offset:3520
	v_mul_u32_u24_sdwa v2, v210, s11 dst_sel:DWORD dst_unused:UNUSED_PAD src0_sel:WORD_0 src1_sel:DWORD
	v_mul_lo_u16_sdwa v2, v2, s5 dst_sel:DWORD dst_unused:UNUSED_PAD src0_sel:BYTE_3 src1_sel:DWORD
	;; [unrolled: 7-line block ×3, first 2 shown]
	v_sub_u16_e32 v25, v168, v2
	v_lshlrev_b16_e32 v2, 4, v25
	v_mov_b32_e32 v3, v197
	v_lshl_add_u64 v[2:3], s[6:7], 0, v[2:3]
	global_load_dwordx4 v[152:155], v[2:3], off offset:3520
	v_accvgpr_write_b32 a133, v4
	ds_read2_b64 v[4:7], v196 offset1:135
	ds_read2_b64 v[8:11], v254 offset0:70 offset1:205
	ds_read2_b64 v[12:15], v169 offset0:12 offset1:147
	v_cmp_lt_u16_e32 vcc, 44, v80
	s_movk_i32 s5, 0x546
	v_lshlrev_b32_e32 v81, 3, v25
	v_mov_b32_e32 v71, v255
	s_mov_b32 s18, s8
	s_mov_b32 s19, s4
	;; [unrolled: 1-line block ×3, first 2 shown]
	s_waitcnt vmcnt(9) lgkmcnt(1)
	v_pk_mul_f32 v[2:3], v[8:9], v[164:165] op_sel:[0,1]
	s_nop 0
	v_pk_fma_f32 v[186:187], v[8:9], v[164:165], v[2:3] op_sel:[0,0,1] op_sel_hi:[1,1,0] neg_lo:[0,0,1] neg_hi:[0,0,1]
	v_pk_fma_f32 v[2:3], v[8:9], v[164:165], v[2:3] op_sel:[0,0,1] op_sel_hi:[1,0,0]
	v_mov_b32_e32 v8, v167
	v_mov_b32_e32 v187, v3
	s_waitcnt lgkmcnt(0)
	v_pk_mul_f32 v[2:3], v[12:13], v[8:9] op_sel_hi:[1,0]
	s_waitcnt vmcnt(8)
	v_mov_b32_e32 v8, v163
	v_pk_fma_f32 v[190:191], v[12:13], v[166:167], v[2:3] op_sel:[0,0,1] op_sel_hi:[1,1,0] neg_lo:[0,0,1] neg_hi:[0,0,1]
	v_pk_fma_f32 v[2:3], v[12:13], v[166:167], v[2:3] op_sel:[0,0,1] op_sel_hi:[1,0,0]
	s_waitcnt vmcnt(7)
	v_mov_b32_e32 v12, v159
	v_mov_b32_e32 v191, v3
	v_pk_add_f32 v[2:3], v[4:5], v[186:187]
	v_accvgpr_write_b32 a216, v167
	v_pk_add_f32 v[180:181], v[2:3], v[190:191]
	v_pk_mul_f32 v[2:3], v[10:11], v[160:161] op_sel:[0,1]
	v_accvgpr_write_b32 a220, v163
	v_pk_fma_f32 v[182:183], v[10:11], v[160:161], v[2:3] op_sel:[0,0,1] op_sel_hi:[1,1,0] neg_lo:[0,0,1] neg_hi:[0,0,1]
	v_pk_fma_f32 v[2:3], v[10:11], v[160:161], v[2:3] op_sel:[0,0,1] op_sel_hi:[1,0,0]
	v_accvgpr_write_b32 a218, v159
	v_mov_b32_e32 v183, v3
	v_pk_mul_f32 v[2:3], v[14:15], v[8:9] op_sel_hi:[1,0]
	s_waitcnt vmcnt(4)
	v_mov_b32_e32 v36, v139
	v_pk_fma_f32 v[194:195], v[14:15], v[162:163], v[2:3] op_sel:[0,0,1] op_sel_hi:[1,1,0] neg_lo:[0,0,1] neg_hi:[0,0,1]
	v_pk_fma_f32 v[2:3], v[14:15], v[162:163], v[2:3] op_sel:[0,0,1] op_sel_hi:[1,0,0]
	ds_read2_b64 v[8:11], v179 offset0:14 offset1:149
	ds_read2_b64 v[18:21], v241 offset0:84 offset1:219
	;; [unrolled: 1-line block ×3, first 2 shown]
	v_mov_b32_e32 v195, v3
	v_pk_add_f32 v[2:3], v[6:7], v[182:183]
	v_lshlrev_b32_e32 v163, 3, v23
	v_pk_add_f32 v[88:89], v[2:3], v[194:195]
	s_waitcnt lgkmcnt(1)
	v_pk_mul_f32 v[2:3], v[18:19], v[156:157] op_sel:[0,1]
	v_mov_b32_e32 v38, v111
	v_pk_fma_f32 v[184:185], v[18:19], v[156:157], v[2:3] op_sel:[0,0,1] op_sel_hi:[1,1,0] neg_lo:[0,0,1] neg_hi:[0,0,1]
	v_pk_fma_f32 v[2:3], v[18:19], v[156:157], v[2:3] op_sel:[0,0,1] op_sel_hi:[1,0,0]
	s_waitcnt vmcnt(3)
	v_accvgpr_write_b32 a228, v107
	v_mov_b32_e32 v185, v3
	s_waitcnt lgkmcnt(0)
	v_pk_mul_f32 v[2:3], v[14:15], v[12:13] op_sel_hi:[1,0]
	v_accvgpr_write_b32 a232, v111
	v_pk_fma_f32 v[188:189], v[14:15], v[158:159], v[2:3] op_sel:[0,0,1] op_sel_hi:[1,1,0] neg_lo:[0,0,1] neg_hi:[0,0,1]
	v_pk_fma_f32 v[2:3], v[14:15], v[158:159], v[2:3] op_sel:[0,0,1] op_sel_hi:[1,0,0]
	v_lshlrev_b32_e32 v159, 3, v24
	v_mov_b32_e32 v189, v3
	v_pk_add_f32 v[2:3], v[8:9], v[184:185]
	v_accvgpr_write_b32 a234, v131
	v_pk_add_f32 v[192:193], v[2:3], v[188:189]
	v_mov_b32_e32 v2, 0x546
	v_cndmask_b32_e32 v2, 0, v2, vcc
	v_add_lshl_u32 v123, v0, v2, 3
	v_mad_legacy_u16 v0, v1, s5, v22
	v_lshlrev_b32_e32 v167, 3, v0
	ds_read2_b64 v[0:3], v173 offset0:56 offset1:191
	ds_read2_b64 v[12:15], v171 offset0:62 offset1:197
	;; [unrolled: 1-line block ×3, first 2 shown]
	s_waitcnt vmcnt(0)
	v_accvgpr_write_b32 a222, v155
	v_accvgpr_write_b32 a224, v151
	;; [unrolled: 1-line block ×3, first 2 shown]
	s_waitcnt lgkmcnt(1)
	v_pk_mul_f32 v[18:19], v[14:15], v[152:153] op_sel:[0,1]
	v_accvgpr_write_b32 a230, v139
	v_pk_fma_f32 v[76:77], v[14:15], v[152:153], v[18:19] op_sel:[0,0,1] op_sel_hi:[1,1,0] neg_lo:[0,0,1] neg_hi:[0,0,1]
	v_pk_fma_f32 v[14:15], v[14:15], v[152:153], v[18:19] op_sel:[0,0,1] op_sel_hi:[1,0,0]
	v_mov_b32_e32 v18, v155
	v_mov_b32_e32 v77, v15
	s_waitcnt lgkmcnt(0)
	v_pk_mul_f32 v[14:15], v[24:25], v[18:19] op_sel_hi:[1,0]
	s_nop 0
	v_pk_fma_f32 v[42:43], v[24:25], v[154:155], v[14:15] op_sel:[0,0,1] op_sel_hi:[1,1,0] neg_lo:[0,0,1] neg_hi:[0,0,1]
	v_pk_fma_f32 v[14:15], v[24:25], v[154:155], v[14:15] op_sel:[0,0,1] op_sel_hi:[1,0,0]
	v_mov_b32_e32 v155, v171
	v_mov_b32_e32 v43, v15
	v_pk_add_f32 v[14:15], v[76:77], v[42:43]
	v_pk_add_f32 v[18:19], v[76:77], v[42:43] neg_lo:[0,1] neg_hi:[0,1]
	v_pk_fma_f32 v[14:15], v[14:15], 0.5, v[2:3] op_sel_hi:[1,0,1] neg_lo:[1,0,0] neg_hi:[1,0,0]
	v_pk_mul_f32 v[24:25], v[18:19], s[10:11] op_sel_hi:[1,0]
	s_nop 0
	v_pk_add_f32 v[18:19], v[14:15], v[24:25] op_sel:[0,1] op_sel_hi:[1,0] neg_lo:[0,1] neg_hi:[0,1]
	v_pk_add_f32 v[32:33], v[14:15], v[24:25] op_sel:[0,1] op_sel_hi:[1,0]
	v_pk_mul_f32 v[14:15], v[12:13], v[148:149] op_sel:[0,1]
	s_nop 0
	v_pk_fma_f32 v[198:199], v[12:13], v[148:149], v[14:15] op_sel:[0,0,1] op_sel_hi:[1,1,0] neg_lo:[0,0,1] neg_hi:[0,0,1]
	v_pk_fma_f32 v[12:13], v[12:13], v[148:149], v[14:15] op_sel:[0,0,1] op_sel_hi:[1,0,0]
	v_mov_b32_e32 v14, v151
	v_mov_b32_e32 v199, v13
	v_pk_mul_f32 v[12:13], v[22:23], v[14:15] op_sel_hi:[1,0]
	s_nop 0
	v_pk_fma_f32 v[200:201], v[22:23], v[150:151], v[12:13] op_sel:[0,0,1] op_sel_hi:[1,1,0] neg_lo:[0,0,1] neg_hi:[0,0,1]
	v_pk_fma_f32 v[12:13], v[22:23], v[150:151], v[12:13] op_sel:[0,0,1] op_sel_hi:[1,0,0]
	v_mov_b32_e32 v151, v169
	v_mov_b32_e32 v201, v13
	v_pk_add_f32 v[12:13], v[198:199], v[200:201]
	v_pk_add_f32 v[14:15], v[198:199], v[200:201] neg_lo:[0,1] neg_hi:[0,1]
	v_pk_fma_f32 v[12:13], v[12:13], 0.5, v[0:1] op_sel_hi:[1,0,1] neg_lo:[1,0,0] neg_hi:[1,0,0]
	v_pk_mul_f32 v[14:15], v[14:15], s[10:11] op_sel_hi:[1,0]
	v_pk_add_f32 v[0:1], v[0:1], v[198:199]
	v_pk_add_f32 v[202:203], v[12:13], v[14:15] op_sel:[0,1] op_sel_hi:[1,0] neg_lo:[0,1] neg_hi:[0,1]
	v_pk_add_f32 v[204:205], v[12:13], v[14:15] op_sel:[0,1] op_sel_hi:[1,0]
	ds_read2_b64 v[12:15], v175 offset0:42 offset1:177
	ds_read2_b64 v[22:25], v255 offset0:112 offset1:247
	;; [unrolled: 1-line block ×3, first 2 shown]
	v_pk_add_f32 v[0:1], v[0:1], v[200:201]
	s_waitcnt lgkmcnt(1)
	v_pk_mul_f32 v[34:35], v[24:25], v[144:145] op_sel:[0,1]
	s_nop 0
	v_pk_fma_f32 v[206:207], v[24:25], v[144:145], v[34:35] op_sel:[0,0,1] op_sel_hi:[1,1,0] neg_lo:[0,0,1] neg_hi:[0,0,1]
	v_pk_fma_f32 v[24:25], v[24:25], v[144:145], v[34:35] op_sel:[0,0,1] op_sel_hi:[1,0,0]
	v_mov_b32_e32 v34, v147
	v_mov_b32_e32 v207, v25
	s_waitcnt lgkmcnt(0)
	v_pk_mul_f32 v[24:25], v[84:85], v[34:35] op_sel_hi:[1,0]
	s_nop 0
	v_pk_fma_f32 v[212:213], v[84:85], v[146:147], v[24:25] op_sel:[0,0,1] op_sel_hi:[1,1,0] neg_lo:[0,0,1] neg_hi:[0,0,1]
	v_pk_fma_f32 v[24:25], v[84:85], v[146:147], v[24:25] op_sel:[0,0,1] op_sel_hi:[1,0,0]
	v_mov_b32_e32 v147, v143
	v_mov_b32_e32 v213, v25
	v_pk_add_f32 v[24:25], v[206:207], v[212:213]
	v_pk_add_f32 v[34:35], v[206:207], v[212:213] neg_lo:[0,1] neg_hi:[0,1]
	v_pk_fma_f32 v[24:25], v[24:25], 0.5, v[14:15] op_sel_hi:[1,0,1] neg_lo:[1,0,0] neg_hi:[1,0,0]
	v_pk_mul_f32 v[34:35], v[34:35], s[10:11] op_sel_hi:[1,0]
	s_nop 0
	v_pk_add_f32 v[214:215], v[24:25], v[34:35] op_sel:[0,1] op_sel_hi:[1,0] neg_lo:[0,1] neg_hi:[0,1]
	v_pk_add_f32 v[218:219], v[24:25], v[34:35] op_sel:[0,1] op_sel_hi:[1,0]
	v_pk_mul_f32 v[24:25], v[22:23], v[104:105] op_sel:[0,1]
	s_nop 0
	v_pk_fma_f32 v[220:221], v[22:23], v[104:105], v[24:25] op_sel:[0,0,1] op_sel_hi:[1,1,0] neg_lo:[0,0,1] neg_hi:[0,0,1]
	v_pk_fma_f32 v[22:23], v[22:23], v[104:105], v[24:25] op_sel:[0,0,1] op_sel_hi:[1,0,0]
	v_mov_b32_e32 v24, v107
	v_mov_b32_e32 v221, v23
	v_pk_mul_f32 v[22:23], v[82:83], v[24:25] op_sel_hi:[1,0]
	s_nop 0
	v_pk_fma_f32 v[222:223], v[82:83], v[106:107], v[22:23] op_sel:[0,0,1] op_sel_hi:[1,1,0] neg_lo:[0,0,1] neg_hi:[0,0,1]
	v_pk_fma_f32 v[22:23], v[82:83], v[106:107], v[22:23] op_sel:[0,0,1] op_sel_hi:[1,0,0]
	v_add_u32_e32 v107, 0x2c00, v196
	v_mov_b32_e32 v223, v23
	v_pk_add_f32 v[22:23], v[220:221], v[222:223]
	v_pk_add_f32 v[24:25], v[220:221], v[222:223] neg_lo:[0,1] neg_hi:[0,1]
	v_pk_fma_f32 v[22:23], v[22:23], 0.5, v[12:13] op_sel_hi:[1,0,1] neg_lo:[1,0,0] neg_hi:[1,0,0]
	v_pk_mul_f32 v[24:25], v[24:25], s[10:11] op_sel_hi:[1,0]
	s_nop 0
	v_pk_add_f32 v[224:225], v[22:23], v[24:25] op_sel:[0,1] op_sel_hi:[1,0] neg_lo:[0,1] neg_hi:[0,1]
	v_pk_add_f32 v[226:227], v[22:23], v[24:25] op_sel:[0,1] op_sel_hi:[1,0]
	ds_read2_b64 v[22:25], v176 offset0:28 offset1:163
	ds_read2_b64 v[82:85], v211 offset0:98 offset1:233
	;; [unrolled: 1-line block ×3, first 2 shown]
	s_waitcnt lgkmcnt(0)
	s_barrier
	v_pk_mul_f32 v[34:35], v[84:85], v[136:137] op_sel:[0,1]
	s_nop 0
	v_pk_fma_f32 v[232:233], v[84:85], v[136:137], v[34:35] op_sel:[0,0,1] op_sel_hi:[1,1,0] neg_lo:[0,0,1] neg_hi:[0,0,1]
	v_pk_fma_f32 v[34:35], v[84:85], v[136:137], v[34:35] op_sel:[0,0,1] op_sel_hi:[1,0,0]
	s_nop 0
	v_mov_b32_e32 v233, v35
	v_pk_mul_f32 v[34:35], v[238:239], v[36:37] op_sel_hi:[1,0]
	s_nop 0
	v_pk_fma_f32 v[234:235], v[238:239], v[138:139], v[34:35] op_sel:[0,0,1] op_sel_hi:[1,1,0] neg_lo:[0,0,1] neg_hi:[0,0,1]
	v_pk_fma_f32 v[34:35], v[238:239], v[138:139], v[34:35] op_sel:[0,0,1] op_sel_hi:[1,0,0]
	v_mov_b32_e32 v139, v176
	v_mov_b32_e32 v235, v35
	v_pk_add_f32 v[34:35], v[232:233], v[234:235]
	v_pk_add_f32 v[36:37], v[232:233], v[234:235] neg_lo:[0,1] neg_hi:[0,1]
	v_pk_fma_f32 v[34:35], v[34:35], 0.5, v[24:25] op_sel_hi:[1,0,1] neg_lo:[1,0,0] neg_hi:[1,0,0]
	v_pk_mul_f32 v[36:37], v[36:37], s[10:11] op_sel_hi:[1,0]
	s_nop 0
	v_pk_add_f32 v[228:229], v[34:35], v[36:37] op_sel:[0,1] op_sel_hi:[1,0] neg_lo:[0,1] neg_hi:[0,1]
	v_pk_add_f32 v[230:231], v[34:35], v[36:37] op_sel:[0,1] op_sel_hi:[1,0]
	v_pk_mul_f32 v[36:37], v[82:83], v[108:109] op_sel:[0,1]
	s_nop 0
	v_pk_fma_f32 v[34:35], v[82:83], v[108:109], v[36:37] op_sel:[0,0,1] op_sel_hi:[1,1,0] neg_lo:[0,0,1] neg_hi:[0,0,1]
	v_pk_fma_f32 v[36:37], v[82:83], v[108:109], v[36:37] op_sel:[0,0,1] op_sel_hi:[1,0,0]
	s_nop 0
	v_mov_b32_e32 v35, v37
	v_pk_mul_f32 v[36:37], v[236:237], v[38:39] op_sel_hi:[1,0]
	s_nop 0
	v_pk_fma_f32 v[40:41], v[236:237], v[110:111], v[36:37] op_sel:[0,0,1] op_sel_hi:[1,1,0] neg_lo:[0,0,1] neg_hi:[0,0,1]
	v_pk_fma_f32 v[36:37], v[236:237], v[110:111], v[36:37] op_sel:[0,0,1] op_sel_hi:[1,0,0]
	v_add_u32_e32 v111, 0x4800, v196
	v_mov_b32_e32 v41, v37
	v_pk_add_f32 v[36:37], v[34:35], v[40:41]
	v_pk_add_f32 v[38:39], v[34:35], v[40:41] neg_lo:[0,1] neg_hi:[0,1]
	v_pk_fma_f32 v[36:37], v[36:37], 0.5, v[22:23] op_sel_hi:[1,0,1] neg_lo:[1,0,0] neg_hi:[1,0,0]
	v_pk_mul_f32 v[38:39], v[38:39], s[10:11] op_sel_hi:[1,0]
	s_nop 0
	v_pk_add_f32 v[82:83], v[36:37], v[38:39] op_sel:[0,1] op_sel_hi:[1,0] neg_lo:[0,1] neg_hi:[0,1]
	v_pk_add_f32 v[78:79], v[36:37], v[38:39] op_sel:[0,1] op_sel_hi:[1,0]
	v_pk_mul_f32 v[36:37], v[20:21], v[128:129] op_sel:[0,1]
	s_nop 0
	v_pk_fma_f32 v[38:39], v[20:21], v[128:129], v[36:37] op_sel:[0,0,1] op_sel_hi:[1,1,0] neg_lo:[0,0,1] neg_hi:[0,0,1]
	v_pk_fma_f32 v[20:21], v[20:21], v[128:129], v[36:37] op_sel:[0,0,1] op_sel_hi:[1,0,0]
	v_mov_b32_e32 v36, v131
	v_mov_b32_e32 v39, v21
	v_pk_mul_f32 v[20:21], v[16:17], v[36:37] op_sel_hi:[1,0]
	s_nop 0
	v_pk_fma_f32 v[36:37], v[16:17], v[130:131], v[20:21] op_sel:[0,0,1] op_sel_hi:[1,1,0] neg_lo:[0,0,1] neg_hi:[0,0,1]
	v_pk_fma_f32 v[16:17], v[16:17], v[130:131], v[20:21] op_sel:[0,0,1] op_sel_hi:[1,0,0]
	v_pk_add_f32 v[20:21], v[186:187], v[190:191]
	v_mov_b32_e32 v37, v17
	v_pk_fma_f32 v[4:5], v[20:21], 0.5, v[4:5] op_sel_hi:[1,0,1] neg_lo:[1,0,0] neg_hi:[1,0,0]
	v_pk_add_f32 v[20:21], v[186:187], v[190:191] neg_lo:[0,1] neg_hi:[0,1]
	v_pk_add_f32 v[16:17], v[10:11], v[38:39]
	v_pk_mul_f32 v[20:21], v[20:21], s[10:11] op_sel_hi:[1,0]
	v_pk_add_f32 v[16:17], v[16:17], v[36:37]
	v_pk_add_f32 v[84:85], v[4:5], v[20:21] op_sel:[0,1] op_sel_hi:[1,0] neg_lo:[0,1] neg_hi:[0,1]
	v_pk_add_f32 v[4:5], v[4:5], v[20:21] op_sel:[0,1] op_sel_hi:[1,0]
	v_mov_b32_e32 v21, v85
	v_mov_b32_e32 v20, v4
	;; [unrolled: 1-line block ×3, first 2 shown]
	v_pk_add_f32 v[4:5], v[182:183], v[194:195]
	ds_write_b64 v196, v[20:21] offset:3600
	v_pk_fma_f32 v[4:5], v[4:5], 0.5, v[6:7] op_sel_hi:[1,0,1] neg_lo:[1,0,0] neg_hi:[1,0,0]
	v_pk_add_f32 v[6:7], v[182:183], v[194:195] neg_lo:[0,1] neg_hi:[0,1]
	ds_write_b64 v196, v[84:85] offset:7200
	ds_write2_b64 v196, v[180:181], v[88:89] offset1:135
	v_pk_mul_f32 v[6:7], v[6:7], s[10:11] op_sel_hi:[1,0]
	ds_write_b64 v196, v[192:193] offset:2160
	v_pk_add_f32 v[20:21], v[4:5], v[6:7] op_sel:[0,1] op_sel_hi:[1,0] neg_lo:[0,1] neg_hi:[0,1]
	v_pk_add_f32 v[4:5], v[4:5], v[6:7] op_sel:[0,1] op_sel_hi:[1,0]
	v_mov_b32_e32 v7, v21
	v_mov_b32_e32 v6, v4
	;; [unrolled: 1-line block ×3, first 2 shown]
	v_pk_add_f32 v[4:5], v[184:185], v[188:189]
	v_add_u32_e32 v131, 0x4400, v196
	v_pk_fma_f32 v[4:5], v[4:5], 0.5, v[8:9] op_sel_hi:[1,0,1] neg_lo:[1,0,0] neg_hi:[1,0,0]
	v_pk_add_f32 v[8:9], v[184:185], v[188:189] neg_lo:[0,1] neg_hi:[0,1]
	s_nop 0
	v_pk_mul_f32 v[8:9], v[8:9], s[10:11] op_sel_hi:[1,0]
	s_nop 0
	v_pk_add_f32 v[84:85], v[4:5], v[8:9] op_sel:[0,1] op_sel_hi:[1,0] neg_lo:[0,1] neg_hi:[0,1]
	v_pk_add_f32 v[4:5], v[4:5], v[8:9] op_sel:[0,1] op_sel_hi:[1,0]
	v_mov_b32_e32 v9, v85
	v_mov_b32_e32 v8, v4
	ds_write2_b64 v176, v[6:7], v[8:9] offset0:73 offset1:208
	v_mov_b32_e32 v85, v5
	v_pk_add_f32 v[4:5], v[38:39], v[36:37]
	v_pk_add_f32 v[6:7], v[38:39], v[36:37] neg_lo:[0,1] neg_hi:[0,1]
	v_pk_fma_f32 v[4:5], v[4:5], 0.5, v[10:11] op_sel_hi:[1,0,1] neg_lo:[1,0,0] neg_hi:[1,0,0]
	v_pk_mul_f32 v[6:7], v[6:7], s[10:11] op_sel_hi:[1,0]
	ds_write2_b64 v173, v[20:21], v[84:85] offset0:11 offset1:146
	ds_write_b64 v123, v[16:17]
	v_pk_add_f32 v[8:9], v[4:5], v[6:7] op_sel:[0,1] op_sel_hi:[1,0]
	v_pk_add_f32 v[4:5], v[4:5], v[6:7] op_sel:[0,1] op_sel_hi:[1,0] neg_lo:[0,1] neg_hi:[0,1]
	v_mov_b32_e32 v6, v8
	v_mov_b32_e32 v7, v5
	;; [unrolled: 1-line block ×3, first 2 shown]
	ds_write_b64 v123, v[4:5] offset:7200
	v_pk_add_f32 v[4:5], v[22:23], v[34:35]
	v_pk_add_f32 v[8:9], v[24:25], v[232:233]
	;; [unrolled: 1-line block ×4, first 2 shown]
	ds_write_b64 v123, v[6:7] offset:3600
	v_mov_b32_e32 v6, v78
	v_mov_b32_e32 v7, v83
	ds_write2_b64 v107, v[4:5], v[8:9] offset0:32 offset1:167
	v_mov_b32_e32 v4, v230
	v_mov_b32_e32 v5, v229
	ds_write2_b64 v211, v[6:7], v[4:5] offset0:98 offset1:233
	v_pk_add_f32 v[4:5], v[12:13], v[220:221]
	v_mov_b32_e32 v83, v79
	v_mov_b32_e32 v229, v231
	v_pk_add_f32 v[4:5], v[4:5], v[222:223]
	ds_write2_b64 v111, v[82:83], v[228:229] offset0:36 offset1:171
	ds_write_b64 v167, v[4:5]
	v_mov_b32_e32 v4, v226
	v_mov_b32_e32 v5, v225
	ds_write_b64 v167, v[4:5] offset:3600
	v_pk_add_f32 v[4:5], v[14:15], v[206:207]
	v_mov_b32_e32 v225, v227
	v_pk_add_f32 v[4:5], v[4:5], v[212:213]
	ds_write_b64 v167, v[224:225] offset:7200
	ds_write_b64 v163, v[4:5] offset:21600
	v_mov_b32_e32 v4, v218
	v_mov_b32_e32 v5, v215
	ds_write_b64 v159, v[0:1] offset:21600
	v_mov_b32_e32 v0, v204
	v_mov_b32_e32 v1, v203
	ds_write_b64 v163, v[4:5] offset:25200
	ds_write_b64 v159, v[0:1] offset:25200
	v_pk_add_f32 v[0:1], v[2:3], v[76:77]
	v_mov_b32_e32 v215, v219
	v_pk_add_f32 v[0:1], v[0:1], v[42:43]
	ds_write_b64 v81, v[0:1] offset:21600
	v_mov_b32_e32 v0, v32
	v_mov_b32_e32 v1, v19
	ds_write_b64 v81, v[0:1] offset:25200
	v_add_co_u32_e32 v0, vcc, s3, v26
	v_mov_b32_e32 v203, v205
	v_mov_b32_e32 v19, v33
	v_addc_co_u32_e32 v1, vcc, 0, v27, vcc
	ds_write_b64 v163, v[214:215] offset:28800
	ds_write_b64 v159, v[202:203] offset:28800
	ds_write_b64 v81, v[18:19] offset:28800
	s_waitcnt lgkmcnt(0)
	s_barrier
	global_load_dwordx4 v[200:203], v[0:1], off offset:2528
	v_add_co_u32_e32 v0, vcc, s3, v28
	v_mov_b32_e32 v40, v240
	s_nop 0
	v_addc_co_u32_e32 v1, vcc, 0, v29, vcc
	global_load_dwordx4 v[204:207], v[0:1], off offset:2528
	v_add_co_u32_e32 v0, vcc, s3, v30
	s_waitcnt vmcnt(1)
	v_accvgpr_write_b32 a236, v203
	v_addc_co_u32_e32 v1, vcc, 0, v31, vcc
	global_load_dwordx4 v[88:91], v[0:1], off offset:2528
	v_lshlrev_b32_e32 v0, 4, v132
	v_mov_b32_e32 v1, v197
	v_lshl_add_u64 v[0:1], s[6:7], 0, v[0:1]
	v_add_co_u32_e32 v0, vcc, s3, v0
	s_waitcnt vmcnt(1)
	v_accvgpr_write_b32 a238, v207
	v_addc_co_u32_e32 v1, vcc, 0, v1, vcc
	global_load_dwordx4 v[192:195], v[0:1], off offset:2528
	v_lshlrev_b32_e32 v0, 4, v172
	v_mov_b32_e32 v1, v197
	v_lshl_add_u64 v[0:1], s[6:7], 0, v[0:1]
	;; [unrolled: 8-line block ×7, first 2 shown]
	v_add_co_u32_e32 v0, vcc, s3, v0
	s_mov_b64 s[6:7], 0x7e90
	s_nop 0
	v_addc_co_u32_e32 v1, vcc, 0, v1, vcc
	global_load_dwordx4 v[96:99], v[0:1], off offset:2528
	ds_read2_b64 v[0:3], v196 offset1:135
	ds_read2_b64 v[4:7], v254 offset0:70 offset1:205
	ds_read2_b64 v[8:11], v169 offset0:12 offset1:147
	s_mov_b32 s3, 0x9000
	s_waitcnt vmcnt(2)
	v_accvgpr_write_b32 a250, v95
	v_mov_b32_e32 v197, v179
	s_waitcnt lgkmcnt(1)
	v_pk_mul_f32 v[12:13], v[4:5], v[200:201] op_sel:[0,1]
	s_waitcnt vmcnt(1)
	v_mov_b32_e32 v84, v103
	v_pk_fma_f32 v[22:23], v[4:5], v[200:201], v[12:13] op_sel:[0,0,1] op_sel_hi:[1,1,0] neg_lo:[0,0,1] neg_hi:[0,0,1]
	v_pk_fma_f32 v[4:5], v[4:5], v[200:201], v[12:13] op_sel:[0,0,1] op_sel_hi:[1,0,0]
	v_mov_b32_e32 v12, v203
	v_mov_b32_e32 v23, v5
	s_waitcnt lgkmcnt(0)
	v_pk_mul_f32 v[4:5], v[8:9], v[12:13] op_sel_hi:[1,0]
	ds_read2_b64 v[12:15], v179 offset0:14 offset1:149
	v_pk_fma_f32 v[24:25], v[8:9], v[202:203], v[4:5] op_sel:[0,0,1] op_sel_hi:[1,1,0] neg_lo:[0,0,1] neg_hi:[0,0,1]
	v_pk_fma_f32 v[4:5], v[8:9], v[202:203], v[4:5] op_sel:[0,0,1] op_sel_hi:[1,0,0]
	s_waitcnt vmcnt(0)
	v_mov_b32_e32 v36, v99
	v_mov_b32_e32 v25, v5
	v_pk_add_f32 v[4:5], v[0:1], v[22:23]
	v_accvgpr_write_b32 a252, v99
	v_pk_add_f32 v[30:31], v[4:5], v[24:25]
	v_pk_mul_f32 v[4:5], v[6:7], v[204:205] op_sel:[0,1]
	v_accvgpr_write_b32 a254, v103
	v_pk_fma_f32 v[20:21], v[6:7], v[204:205], v[4:5] op_sel:[0,0,1] op_sel_hi:[1,1,0] neg_lo:[0,0,1] neg_hi:[0,0,1]
	v_pk_fma_f32 v[4:5], v[6:7], v[204:205], v[4:5] op_sel:[0,0,1] op_sel_hi:[1,0,0]
	v_mov_b32_e32 v6, v207
	v_mov_b32_e32 v21, v5
	v_pk_mul_f32 v[4:5], v[10:11], v[6:7] op_sel_hi:[1,0]
	v_mov_b32_e32 v203, v245
	v_pk_fma_f32 v[26:27], v[10:11], v[206:207], v[4:5] op_sel:[0,0,1] op_sel_hi:[1,1,0] neg_lo:[0,0,1] neg_hi:[0,0,1]
	v_pk_fma_f32 v[4:5], v[10:11], v[206:207], v[4:5] op_sel:[0,0,1] op_sel_hi:[1,0,0]
	ds_read2_b64 v[8:11], v240 offset0:26 offset1:161
	v_mov_b32_e32 v27, v5
	v_pk_add_f32 v[4:5], v[2:3], v[20:21]
	v_mov_b32_e32 v207, v241
	v_pk_add_f32 v[212:213], v[4:5], v[26:27]
	ds_read2_b64 v[4:7], v241 offset0:84 offset1:219
	s_waitcnt lgkmcnt(0)
	v_pk_mul_f32 v[16:17], v[4:5], v[88:89] op_sel:[0,1]
	s_nop 0
	v_pk_fma_f32 v[226:227], v[4:5], v[88:89], v[16:17] op_sel:[0,0,1] op_sel_hi:[1,1,0] neg_lo:[0,0,1] neg_hi:[0,0,1]
	v_pk_fma_f32 v[4:5], v[4:5], v[88:89], v[16:17] op_sel:[0,0,1] op_sel_hi:[1,0,0]
	v_mov_b32_e32 v16, v91
	v_mov_b32_e32 v227, v5
	v_pk_mul_f32 v[4:5], v[8:9], v[16:17] op_sel_hi:[1,0]
	s_nop 0
	v_pk_fma_f32 v[228:229], v[8:9], v[90:91], v[4:5] op_sel:[0,0,1] op_sel_hi:[1,1,0] neg_lo:[0,0,1] neg_hi:[0,0,1]
	v_pk_fma_f32 v[4:5], v[8:9], v[90:91], v[4:5] op_sel:[0,0,1] op_sel_hi:[1,0,0]
	v_add_u32_e32 v91, 0x3c00, v196
	v_mov_b32_e32 v229, v5
	v_pk_add_f32 v[4:5], v[12:13], v[226:227]
	s_nop 0
	v_pk_add_f32 v[220:221], v[4:5], v[228:229]
	v_pk_mul_f32 v[4:5], v[6:7], v[192:193] op_sel:[0,1]
	s_nop 0
	v_pk_fma_f32 v[76:77], v[6:7], v[192:193], v[4:5] op_sel:[0,0,1] op_sel_hi:[1,1,0] neg_lo:[0,0,1] neg_hi:[0,0,1]
	v_pk_fma_f32 v[4:5], v[6:7], v[192:193], v[4:5] op_sel:[0,0,1] op_sel_hi:[1,0,0]
	v_mov_b32_e32 v6, v195
	v_mov_b32_e32 v77, v5
	v_pk_mul_f32 v[4:5], v[10:11], v[6:7] op_sel_hi:[1,0]
	s_nop 0
	v_pk_fma_f32 v[240:241], v[10:11], v[194:195], v[4:5] op_sel:[0,0,1] op_sel_hi:[1,1,0] neg_lo:[0,0,1] neg_hi:[0,0,1]
	v_pk_fma_f32 v[4:5], v[10:11], v[194:195], v[4:5] op_sel:[0,0,1] op_sel_hi:[1,0,0]
	v_mov_b32_e32 v195, v177
	v_mov_b32_e32 v241, v5
	v_pk_add_f32 v[4:5], v[14:15], v[76:77]
	s_nop 0
	v_pk_add_f32 v[242:243], v[4:5], v[240:241]
	ds_read2_b64 v[4:7], v176 offset0:28 offset1:163
	ds_read2_b64 v[8:11], v211 offset0:98 offset1:233
	;; [unrolled: 1-line block ×3, first 2 shown]
	s_waitcnt lgkmcnt(1)
	v_pk_mul_f32 v[28:29], v[8:9], v[188:189] op_sel:[0,1]
	s_nop 0
	v_pk_fma_f32 v[78:79], v[8:9], v[188:189], v[28:29] op_sel:[0,0,1] op_sel_hi:[1,1,0] neg_lo:[0,0,1] neg_hi:[0,0,1]
	v_pk_fma_f32 v[8:9], v[8:9], v[188:189], v[28:29] op_sel:[0,0,1] op_sel_hi:[1,0,0]
	v_mov_b32_e32 v28, v191
	v_mov_b32_e32 v79, v9
	s_waitcnt lgkmcnt(0)
	v_pk_mul_f32 v[8:9], v[16:17], v[28:29] op_sel_hi:[1,0]
	s_nop 0
	v_pk_fma_f32 v[82:83], v[16:17], v[190:191], v[8:9] op_sel:[0,0,1] op_sel_hi:[1,1,0] neg_lo:[0,0,1] neg_hi:[0,0,1]
	v_pk_fma_f32 v[8:9], v[16:17], v[190:191], v[8:9] op_sel:[0,0,1] op_sel_hi:[1,0,0]
	v_mov_b32_e32 v191, v142
	v_mov_b32_e32 v83, v9
	v_pk_add_f32 v[8:9], v[4:5], v[78:79]
	s_nop 0
	v_pk_add_f32 v[28:29], v[8:9], v[82:83]
	v_pk_mul_f32 v[8:9], v[10:11], v[184:185] op_sel:[0,1]
	s_nop 0
	v_pk_fma_f32 v[32:33], v[10:11], v[184:185], v[8:9] op_sel:[0,0,1] op_sel_hi:[1,1,0] neg_lo:[0,0,1] neg_hi:[0,0,1]
	v_pk_fma_f32 v[8:9], v[10:11], v[184:185], v[8:9] op_sel:[0,0,1] op_sel_hi:[1,0,0]
	v_mov_b32_e32 v10, v187
	v_mov_b32_e32 v33, v9
	v_pk_mul_f32 v[8:9], v[18:19], v[10:11] op_sel_hi:[1,0]
	s_nop 0
	v_pk_fma_f32 v[42:43], v[18:19], v[186:187], v[8:9] op_sel:[0,0,1] op_sel_hi:[1,1,0] neg_lo:[0,0,1] neg_hi:[0,0,1]
	v_pk_fma_f32 v[8:9], v[18:19], v[186:187], v[8:9] op_sel:[0,0,1] op_sel_hi:[1,0,0]
	v_mov_b32_e32 v187, v175
	v_mov_b32_e32 v43, v9
	v_pk_add_f32 v[8:9], v[6:7], v[32:33]
	s_nop 0
	v_pk_add_f32 v[210:211], v[8:9], v[42:43]
	ds_read2_b64 v[8:11], v175 offset0:42 offset1:177
	ds_read2_b64 v[16:19], v255 offset0:112 offset1:247
	;; [unrolled: 1-line block ×3, first 2 shown]
	s_waitcnt lgkmcnt(1)
	v_pk_mul_f32 v[34:35], v[16:17], v[180:181] op_sel:[0,1]
	s_nop 0
	v_pk_fma_f32 v[218:219], v[16:17], v[180:181], v[34:35] op_sel:[0,0,1] op_sel_hi:[1,1,0] neg_lo:[0,0,1] neg_hi:[0,0,1]
	v_pk_fma_f32 v[16:17], v[16:17], v[180:181], v[34:35] op_sel:[0,0,1] op_sel_hi:[1,0,0]
	v_mov_b32_e32 v34, v183
	v_mov_b32_e32 v219, v17
	s_waitcnt lgkmcnt(0)
	v_pk_mul_f32 v[16:17], v[230:231], v[34:35] op_sel_hi:[1,0]
	s_nop 0
	v_pk_fma_f32 v[224:225], v[230:231], v[182:183], v[16:17] op_sel:[0,0,1] op_sel_hi:[1,1,0] neg_lo:[0,0,1] neg_hi:[0,0,1]
	v_pk_fma_f32 v[16:17], v[230:231], v[182:183], v[16:17] op_sel:[0,0,1] op_sel_hi:[1,0,0]
	v_mov_b32_e32 v183, v173
	v_mov_b32_e32 v225, v17
	v_pk_add_f32 v[16:17], v[8:9], v[218:219]
	s_nop 0
	v_pk_add_f32 v[214:215], v[16:17], v[224:225]
	v_pk_mul_f32 v[16:17], v[18:19], v[92:93] op_sel:[0,1]
	s_nop 0
	v_pk_fma_f32 v[222:223], v[18:19], v[92:93], v[16:17] op_sel:[0,0,1] op_sel_hi:[1,1,0] neg_lo:[0,0,1] neg_hi:[0,0,1]
	v_pk_fma_f32 v[16:17], v[18:19], v[92:93], v[16:17] op_sel:[0,0,1] op_sel_hi:[1,0,0]
	v_mov_b32_e32 v18, v95
	v_mov_b32_e32 v223, v17
	v_pk_mul_f32 v[16:17], v[232:233], v[18:19] op_sel_hi:[1,0]
	s_nop 0
	v_pk_fma_f32 v[230:231], v[232:233], v[94:95], v[16:17] op_sel:[0,0,1] op_sel_hi:[1,1,0] neg_lo:[0,0,1] neg_hi:[0,0,1]
	v_pk_fma_f32 v[16:17], v[232:233], v[94:95], v[16:17] op_sel:[0,0,1] op_sel_hi:[1,0,0]
	v_add_u32_e32 v95, 0x6000, v196
	v_mov_b32_e32 v231, v17
	v_pk_add_f32 v[16:17], v[10:11], v[222:223]
	s_nop 0
	v_pk_add_f32 v[236:237], v[16:17], v[230:231]
	ds_read2_b64 v[16:19], v173 offset0:56 offset1:191
	ds_read2_b64 v[246:249], v171 offset0:62 offset1:197
	;; [unrolled: 1-line block ×3, first 2 shown]
	ds_write2_b64 v196, v[30:31], v[212:213] offset1:135
	v_pk_add_f32 v[30:31], v[226:227], v[228:229]
	s_waitcnt lgkmcnt(2)
	v_pk_mul_f32 v[34:35], v[248:249], v[96:97] op_sel:[0,1]
	s_nop 0
	v_pk_fma_f32 v[232:233], v[248:249], v[96:97], v[34:35] op_sel:[0,0,1] op_sel_hi:[1,1,0] neg_lo:[0,0,1] neg_hi:[0,0,1]
	v_pk_fma_f32 v[34:35], v[248:249], v[96:97], v[34:35] op_sel:[0,0,1] op_sel_hi:[1,0,0]
	v_pk_fma_f32 v[12:13], v[30:31], 0.5, v[12:13] op_sel_hi:[1,0,1] neg_lo:[1,0,0] neg_hi:[1,0,0]
	v_mov_b32_e32 v233, v35
	s_waitcnt lgkmcnt(1)
	v_pk_mul_f32 v[34:35], v[252:253], v[36:37] op_sel_hi:[1,0]
	v_pk_add_f32 v[30:31], v[226:227], v[228:229] neg_lo:[0,1] neg_hi:[0,1]
	v_pk_fma_f32 v[234:235], v[252:253], v[98:99], v[34:35] op_sel:[0,0,1] op_sel_hi:[1,1,0] neg_lo:[0,0,1] neg_hi:[0,0,1]
	v_pk_fma_f32 v[34:35], v[252:253], v[98:99], v[34:35] op_sel:[0,0,1] op_sel_hi:[1,0,0]
	v_pk_mul_f32 v[30:31], v[30:31], s[10:11] op_sel_hi:[1,0]
	v_mov_b32_e32 v235, v35
	v_pk_add_f32 v[34:35], v[18:19], v[232:233]
	v_mov_b32_e32 v99, v254
	v_pk_add_f32 v[238:239], v[34:35], v[234:235]
	v_pk_add_f32 v[34:35], v[12:13], v[30:31] op_sel:[0,1] op_sel_hi:[1,0]
	v_pk_add_f32 v[12:13], v[12:13], v[30:31] op_sel:[0,1] op_sel_hi:[1,0] neg_lo:[0,1] neg_hi:[0,1]
	v_mov_b32_e32 v30, v34
	v_mov_b32_e32 v31, v13
	ds_write_b64 v196, v[30:31] offset:12960
	ds_write2_b64 v179, v[220:221], v[242:243] offset0:14 offset1:149
	v_pk_add_f32 v[30:31], v[76:77], v[240:241]
	v_mov_b32_e32 v13, v35
	v_pk_fma_f32 v[14:15], v[30:31], 0.5, v[14:15] op_sel_hi:[1,0,1] neg_lo:[1,0,0] neg_hi:[1,0,0]
	v_pk_add_f32 v[30:31], v[76:77], v[240:241] neg_lo:[0,1] neg_hi:[0,1]
	s_nop 0
	v_pk_mul_f32 v[30:31], v[30:31], s[10:11] op_sel_hi:[1,0]
	s_nop 0
	v_pk_add_f32 v[36:37], v[14:15], v[30:31] op_sel:[0,1] op_sel_hi:[1,0]
	v_pk_add_f32 v[14:15], v[14:15], v[30:31] op_sel:[0,1] op_sel_hi:[1,0] neg_lo:[0,1] neg_hi:[0,1]
	v_mov_b32_e32 v30, v36
	v_mov_b32_e32 v31, v15
	;; [unrolled: 1-line block ×3, first 2 shown]
	ds_write2_b64 v40, v[12:13], v[14:15] offset0:26 offset1:161
	v_pk_add_f32 v[12:13], v[22:23], v[24:25]
	v_pk_add_f32 v[36:37], v[78:79], v[82:83]
	v_pk_fma_f32 v[0:1], v[12:13], 0.5, v[0:1] op_sel_hi:[1,0,1] neg_lo:[1,0,0] neg_hi:[1,0,0]
	v_pk_add_f32 v[12:13], v[22:23], v[24:25] neg_lo:[0,1] neg_hi:[0,1]
	v_pk_fma_f32 v[4:5], v[36:37], 0.5, v[4:5] op_sel_hi:[1,0,1] neg_lo:[1,0,0] neg_hi:[1,0,0]
	v_pk_mul_f32 v[12:13], v[12:13], s[10:11] op_sel_hi:[1,0]
	v_pk_add_f32 v[36:37], v[78:79], v[82:83] neg_lo:[0,1] neg_hi:[0,1]
	v_pk_add_f32 v[14:15], v[0:1], v[12:13] op_sel:[0,1] op_sel_hi:[1,0]
	v_pk_add_f32 v[0:1], v[0:1], v[12:13] op_sel:[0,1] op_sel_hi:[1,0] neg_lo:[0,1] neg_hi:[0,1]
	v_mov_b32_e32 v13, v15
	v_mov_b32_e32 v12, v0
	;; [unrolled: 1-line block ×3, first 2 shown]
	v_pk_add_f32 v[0:1], v[20:21], v[26:27]
	v_pk_mul_f32 v[36:37], v[36:37], s[10:11] op_sel_hi:[1,0]
	v_pk_fma_f32 v[0:1], v[0:1], 0.5, v[2:3] op_sel_hi:[1,0,1] neg_lo:[1,0,0] neg_hi:[1,0,0]
	v_pk_add_f32 v[2:3], v[20:21], v[26:27] neg_lo:[0,1] neg_hi:[0,1]
	v_pk_add_f32 v[38:39], v[4:5], v[36:37] op_sel:[0,1] op_sel_hi:[1,0]
	v_pk_mul_f32 v[2:3], v[2:3], s[10:11] op_sel_hi:[1,0]
	v_pk_add_f32 v[4:5], v[4:5], v[36:37] op_sel:[0,1] op_sel_hi:[1,0] neg_lo:[0,1] neg_hi:[0,1]
	v_pk_add_f32 v[20:21], v[0:1], v[2:3] op_sel:[0,1] op_sel_hi:[1,0]
	v_pk_add_f32 v[0:1], v[0:1], v[2:3] op_sel:[0,1] op_sel_hi:[1,0] neg_lo:[0,1] neg_hi:[0,1]
	v_mov_b32_e32 v3, v21
	v_mov_b32_e32 v2, v0
	ds_write2_b64 v169, v[12:13], v[2:3] offset0:12 offset1:147
	v_mov_b32_e32 v21, v1
	v_pk_add_f32 v[0:1], v[32:33], v[42:43]
	v_pk_add_f32 v[2:3], v[32:33], v[42:43] neg_lo:[0,1] neg_hi:[0,1]
	v_pk_fma_f32 v[0:1], v[0:1], 0.5, v[6:7] op_sel_hi:[1,0,1] neg_lo:[1,0,0] neg_hi:[1,0,0]
	v_pk_mul_f32 v[2:3], v[2:3], s[10:11] op_sel_hi:[1,0]
	v_mov_b32_e32 v36, v38
	v_pk_add_f32 v[6:7], v[0:1], v[2:3] op_sel:[0,1] op_sel_hi:[1,0]
	v_pk_add_f32 v[0:1], v[0:1], v[2:3] op_sel:[0,1] op_sel_hi:[1,0] neg_lo:[0,1] neg_hi:[0,1]
	v_mov_b32_e32 v37, v5
	v_mov_b32_e32 v5, v39
	;; [unrolled: 1-line block ×4, first 2 shown]
	ds_write2_b64 v142, v[30:31], v[36:37] offset0:91 offset1:226
	ds_write_b64 v196, v[4:5] offset:25920
	ds_write2_b64 v254, v[14:15], v[20:21] offset0:70 offset1:205
	ds_write2_b64 v176, v[28:29], v[210:211] offset0:28 offset1:163
	v_mov_b32_e32 v2, v6
	ds_write_b64 v196, v[0:1] offset:27000
	v_pk_add_f32 v[0:1], v[218:219], v[224:225]
	v_pk_add_f32 v[6:7], v[218:219], v[224:225] neg_lo:[0,1] neg_hi:[0,1]
	v_pk_fma_f32 v[0:1], v[0:1], 0.5, v[8:9] op_sel_hi:[1,0,1] neg_lo:[1,0,0] neg_hi:[1,0,0]
	v_pk_mul_f32 v[6:7], v[6:7], s[10:11] op_sel_hi:[1,0]
	v_pk_mul_f32 v[4:5], v[246:247], v[100:101] op_sel:[0,1]
	v_pk_add_f32 v[8:9], v[0:1], v[6:7] op_sel:[0,1] op_sel_hi:[1,0]
	v_pk_add_f32 v[0:1], v[0:1], v[6:7] op_sel:[0,1] op_sel_hi:[1,0] neg_lo:[0,1] neg_hi:[0,1]
	v_mov_b32_e32 v6, v8
	v_mov_b32_e32 v7, v1
	v_pk_fma_f32 v[30:31], v[246:247], v[100:101], v[4:5] op_sel:[0,0,1] op_sel_hi:[1,1,0] neg_lo:[0,0,1] neg_hi:[0,0,1]
	v_pk_fma_f32 v[4:5], v[246:247], v[100:101], v[4:5] op_sel:[0,0,1] op_sel_hi:[1,0,0]
	ds_write2_b64 v91, v[2:3], v[6:7] offset0:105 offset1:240
	v_pk_add_f32 v[2:3], v[222:223], v[230:231]
	v_pk_add_f32 v[6:7], v[222:223], v[230:231] neg_lo:[0,1] neg_hi:[0,1]
	v_mov_b32_e32 v31, v5
	v_pk_mul_f32 v[4:5], v[250:251], v[84:85] op_sel_hi:[1,0]
	v_pk_fma_f32 v[2:3], v[2:3], 0.5, v[10:11] op_sel_hi:[1,0,1] neg_lo:[1,0,0] neg_hi:[1,0,0]
	v_pk_mul_f32 v[6:7], v[6:7], s[10:11] op_sel_hi:[1,0]
	v_pk_fma_f32 v[36:37], v[250:251], v[102:103], v[4:5] op_sel:[0,0,1] op_sel_hi:[1,1,0] neg_lo:[0,0,1] neg_hi:[0,0,1]
	v_pk_fma_f32 v[4:5], v[250:251], v[102:103], v[4:5] op_sel:[0,0,1] op_sel_hi:[1,0,0]
	v_mov_b32_e32 v1, v9
	v_pk_add_f32 v[8:9], v[2:3], v[6:7] op_sel:[0,1] op_sel_hi:[1,0]
	v_pk_add_f32 v[2:3], v[2:3], v[6:7] op_sel:[0,1] op_sel_hi:[1,0] neg_lo:[0,1] neg_hi:[0,1]
	v_mov_b32_e32 v37, v5
	v_mov_b32_e32 v7, v3
	;; [unrolled: 1-line block ×3, first 2 shown]
	ds_write2_b64 v143, v[0:1], v[2:3] offset0:54 offset1:189
	v_pk_add_f32 v[0:1], v[30:31], v[36:37]
	v_pk_add_f32 v[2:3], v[30:31], v[36:37] neg_lo:[0,1] neg_hi:[0,1]
	v_pk_fma_f32 v[0:1], v[0:1], 0.5, v[16:17] op_sel_hi:[1,0,1] neg_lo:[1,0,0] neg_hi:[1,0,0]
	v_pk_mul_f32 v[2:3], v[2:3], s[10:11] op_sel_hi:[1,0]
	v_pk_add_f32 v[4:5], v[16:17], v[30:31]
	v_mov_b32_e32 v6, v8
	v_pk_add_f32 v[8:9], v[0:1], v[2:3] op_sel:[0,1] op_sel_hi:[1,0]
	v_pk_add_f32 v[0:1], v[0:1], v[2:3] op_sel:[0,1] op_sel_hi:[1,0] neg_lo:[0,1] neg_hi:[0,1]
	v_pk_add_f32 v[4:5], v[4:5], v[36:37]
	v_mov_b32_e32 v2, v8
	v_mov_b32_e32 v3, v1
	ds_write2_b64 v131, v[6:7], v[2:3] offset0:119 offset1:254
	ds_write2_b64 v173, v[4:5], v[238:239] offset0:56 offset1:191
	v_pk_add_f32 v[2:3], v[232:233], v[234:235]
	v_pk_add_f32 v[4:5], v[232:233], v[234:235] neg_lo:[0,1] neg_hi:[0,1]
	v_pk_fma_f32 v[2:3], v[2:3], 0.5, v[18:19] op_sel_hi:[1,0,1] neg_lo:[1,0,0] neg_hi:[1,0,0]
	v_pk_mul_f32 v[4:5], v[4:5], s[10:11] op_sel_hi:[1,0]
	v_mov_b32_e32 v1, v9
	v_pk_add_f32 v[6:7], v[2:3], v[4:5] op_sel:[0,1] op_sel_hi:[1,0]
	v_pk_add_f32 v[2:3], v[2:3], v[4:5] op_sel:[0,1] op_sel_hi:[1,0] neg_lo:[0,1] neg_hi:[0,1]
	v_mov_b32_e32 v4, v6
	v_mov_b32_e32 v5, v3
	;; [unrolled: 1-line block ×3, first 2 shown]
	ds_write2_b64 v175, v[214:215], v[236:237] offset0:42 offset1:177
	ds_write_b64 v196, v[4:5] offset:20520
	ds_write2_b64 v177, v[0:1], v[2:3] offset0:68 offset1:203
	s_waitcnt lgkmcnt(0)
	s_barrier
	global_load_dwordx2 v[0:1], v[208:209], off offset:3728
	ds_read2_b64 v[6:9], v196 offset1:135
	v_lshl_add_u64 v[230:231], v[216:217], 0, s[6:7]
	v_add_co_u32_e32 v234, vcc, s3, v216
	s_mov_b32 s3, 0xa000
	s_nop 0
	v_addc_co_u32_e32 v235, vcc, 0, v217, vcc
	v_add_co_u32_e32 v226, vcc, s3, v216
	s_mov_b32 s3, 0xb000
	s_nop 0
	v_addc_co_u32_e32 v227, vcc, 0, v217, vcc
	;; [unrolled: 4-line block ×4, first 2 shown]
	v_mov_b32_e32 v103, v40
	s_mov_b32 s6, s4
	s_mov_b32 s7, s2
	s_waitcnt vmcnt(0) lgkmcnt(0)
	v_mul_f32_e32 v2, v7, v1
	v_mul_f32_e32 v3, v6, v1
	v_fma_f32 v2, v6, v0, -v2
	v_fmac_f32_e32 v3, v7, v0
	global_load_dwordx2 v[0:1], v[230:231], off offset:3240
	ds_write_b64 v196, v[2:3]
	ds_read2_b64 v[18:21], v179 offset0:14 offset1:149
	ds_read2_b64 v[14:17], v173 offset0:56 offset1:191
	;; [unrolled: 1-line block ×8, first 2 shown]
	s_waitcnt vmcnt(0) lgkmcnt(7)
	v_mul_f32_e32 v2, v21, v1
	v_mul_f32_e32 v25, v20, v1
	v_fma_f32 v24, v20, v0, -v2
	v_fmac_f32_e32 v25, v21, v0
	global_load_dwordx2 v[0:1], v[234:235], off offset:2016
	ds_read2_b64 v[20:23], v175 offset0:42 offset1:177
	s_waitcnt vmcnt(0) lgkmcnt(0)
	v_mul_f32_e32 v2, v21, v1
	v_mul_f32_e32 v233, v20, v1
	v_fma_f32 v232, v20, v0, -v2
	v_fmac_f32_e32 v233, v21, v0
	global_load_dwordx2 v[0:1], v[226:227], off offset:1160
	s_waitcnt vmcnt(0)
	v_mul_f32_e32 v2, v17, v1
	v_mul_f32_e32 v21, v16, v1
	v_fma_f32 v20, v16, v0, -v2
	v_fmac_f32_e32 v21, v17, v0
	global_load_dwordx2 v[0:1], v[220:221], off offset:304
	s_waitcnt vmcnt(0)
	;; [unrolled: 6-line block ×4, first 2 shown]
	v_mul_f32_e32 v2, v31, v1
	v_fma_f32 v222, v30, v0, -v2
	v_mul_f32_e32 v223, v30, v1
	v_add_co_u32_e32 v30, vcc, s3, v216
	v_fmac_f32_e32 v223, v31, v0
	s_nop 0
	v_addc_co_u32_e32 v31, vcc, 0, v217, vcc
	global_load_dwordx2 v[0:1], v[30:31], off offset:1832
	s_mov_b32 s3, 0xe000
	v_add_co_u32_e32 v16, vcc, s3, v216
	s_mov_b32 s3, 0xf000
	s_nop 0
	v_addc_co_u32_e32 v17, vcc, 0, v217, vcc
	v_add_co_u32_e32 v12, vcc, s3, v216
	s_mov_b32 s3, 0x8000
	s_nop 0
	v_addc_co_u32_e32 v13, vcc, 0, v217, vcc
	s_waitcnt vmcnt(0)
	v_mul_f32_e32 v2, v7, v1
	v_mul_f32_e32 v239, v6, v1
	v_fma_f32 v238, v6, v0, -v2
	v_fmac_f32_e32 v239, v7, v0
	global_load_dwordx2 v[0:1], v[16:17], off offset:976
	global_load_dwordx2 v[6:7], v[12:13], off offset:120
	s_waitcnt vmcnt(1)
	v_mul_f32_e32 v2, v209, v1
	v_mul_f32_e32 v219, v208, v1
	v_fma_f32 v218, v208, v0, -v2
	v_fmac_f32_e32 v219, v209, v0
	ds_read2_b64 v[0:3], v143 offset0:54 offset1:189
	s_waitcnt vmcnt(0) lgkmcnt(0)
	v_mul_f32_e32 v26, v3, v7
	v_mul_f32_e32 v79, v2, v7
	v_fma_f32 v78, v2, v6, -v26
	v_fmac_f32_e32 v79, v3, v6
	global_load_dwordx2 v[2:3], v[230:231], off offset:1080
	s_waitcnt vmcnt(0)
	v_mul_f32_e32 v6, v9, v3
	v_mul_f32_e32 v35, v8, v3
	v_fma_f32 v34, v8, v2, -v6
	v_fmac_f32_e32 v35, v9, v2
	v_add_co_u32_e32 v2, vcc, s3, v216
	s_nop 1
	v_addc_co_u32_e32 v3, vcc, 0, v217, vcc
	global_load_dwordx2 v[2:3], v[2:3], off offset:3952
	s_waitcnt vmcnt(0)
	v_mul_f32_e32 v6, v213, v3
	v_mul_f32_e32 v7, v212, v3
	v_fma_f32 v6, v212, v2, -v6
	v_fmac_f32_e32 v7, v213, v2
	v_add_u32_e32 v2, 0xc00, v196
	ds_write2_b64 v2, v[24:25], v[6:7] offset0:21 offset1:156
	global_load_dwordx2 v[2:3], v[234:235], off offset:3096
	ds_read2_b64 v[24:27], v254 offset0:70 offset1:205
	s_waitcnt vmcnt(0)
	v_mul_f32_e32 v6, v23, v3
	v_mul_f32_e32 v77, v22, v3
	v_fma_f32 v76, v22, v2, -v6
	v_fmac_f32_e32 v77, v23, v2
	global_load_dwordx2 v[2:3], v[226:227], off offset:2240
	s_waitcnt vmcnt(0) lgkmcnt(0)
	v_mul_f32_e32 v6, v25, v3
	v_mul_f32_e32 v7, v24, v3
	v_fma_f32 v6, v24, v2, -v6
	v_fmac_f32_e32 v7, v25, v2
	v_add_u32_e32 v2, 0x2400, v196
	ds_write2_b64 v2, v[20:21], v[6:7] offset0:63 offset1:198
	global_load_dwordx2 v[2:3], v[220:221], off offset:1384
	ds_read2_b64 v[22:25], v255 offset0:112 offset1:247
	s_waitcnt vmcnt(0)
	v_mul_f32_e32 v6, v29, v3
	v_mul_f32_e32 v43, v28, v3
	v_fma_f32 v42, v28, v2, -v6
	v_fmac_f32_e32 v43, v29, v2
	global_load_dwordx2 v[2:3], v[224:225], off offset:528
	s_waitcnt vmcnt(0) lgkmcnt(0)
	v_mul_f32_e32 v6, v23, v3
	v_mul_f32_e32 v7, v22, v3
	v_fma_f32 v6, v22, v2, -v6
	v_fmac_f32_e32 v7, v23, v2
	global_load_dwordx2 v[2:3], v[224:225], off offset:3768
	ds_write2_b64 v91, v[236:237], v[6:7] offset0:105 offset1:240
	ds_read2_b64 v[20:23], v40 offset0:26 offset1:161
	s_waitcnt vmcnt(0)
	v_mul_f32_e32 v6, v33, v3
	v_mul_f32_e32 v29, v32, v3
	v_fma_f32 v28, v32, v2, -v6
	v_fmac_f32_e32 v29, v33, v2
	global_load_dwordx2 v[2:3], v[30:31], off offset:2912
	s_waitcnt vmcnt(0) lgkmcnt(0)
	v_mul_f32_e32 v6, v21, v3
	v_mul_f32_e32 v7, v20, v3
	v_fma_f32 v6, v20, v2, -v6
	v_fmac_f32_e32 v7, v21, v2
	v_add_u32_e32 v2, 0x5800, v196
	ds_write2_b64 v2, v[238:239], v[6:7] offset0:19 offset1:154
	global_load_dwordx2 v[6:7], v[16:17], off offset:2056
	global_load_dwordx2 v[20:21], v[12:13], off offset:1200
	s_waitcnt vmcnt(1)
	v_mul_f32_e32 v2, v211, v7
	v_mul_f32_e32 v3, v210, v7
	v_fma_f32 v2, v210, v6, -v2
	v_fmac_f32_e32 v3, v211, v6
	ds_read2_b64 v[6:9], v177 offset0:68 offset1:203
	s_waitcnt vmcnt(0) lgkmcnt(0)
	v_mul_f32_e32 v32, v7, v21
	v_mul_f32_e32 v33, v6, v21
	v_fma_f32 v32, v6, v20, -v32
	v_fmac_f32_e32 v33, v7, v20
	v_add_u32_e32 v6, 0x7000, v196
	ds_write2_b64 v6, v[78:79], v[32:33] offset0:61 offset1:196
	global_load_dwordx2 v[6:7], v[230:231], off offset:2160
	s_waitcnt vmcnt(0)
	v_mul_f32_e32 v20, v19, v7
	v_mul_f32_e32 v21, v18, v7
	v_fma_f32 v20, v18, v6, -v20
	v_fmac_f32_e32 v21, v19, v6
	v_add_u32_e32 v6, 0x400, v196
	ds_write2_b64 v6, v[34:35], v[20:21] offset0:7 offset1:142
	global_load_dwordx2 v[6:7], v[234:235], off offset:936
	s_waitcnt vmcnt(0)
	;; [unrolled: 8-line block ×3, first 2 shown]
	v_mul_f32_e32 v18, v15, v7
	v_mul_f32_e32 v19, v14, v7
	v_fma_f32 v18, v14, v6, -v18
	v_fmac_f32_e32 v19, v15, v6
	global_load_dwordx2 v[6:7], v[226:227], off offset:3320
	ds_write2_b64 v127, v[76:77], v[18:19] offset0:49 offset1:184
	s_waitcnt vmcnt(0)
	v_mul_f32_e32 v14, v27, v7
	v_mul_f32_e32 v15, v26, v7
	v_fma_f32 v14, v26, v6, -v14
	v_fmac_f32_e32 v15, v27, v6
	global_load_dwordx2 v[6:7], v[220:221], off offset:2464
	ds_write2_b64 v107, v[14:15], v[228:229] offset0:77 offset1:212
	s_waitcnt vmcnt(0)
	;; [unrolled: 7-line block ×7, first 2 shown]
	v_mul_f32_e32 v2, v9, v1
	v_mul_f32_e32 v3, v8, v1
	v_fma_f32 v2, v8, v0, -v2
	v_fmac_f32_e32 v3, v9, v0
	ds_write_b64 v196, v[2:3] offset:31320
	s_waitcnt lgkmcnt(0)
	s_barrier
	ds_read2_b64 v[12:15], v196 offset1:135
	ds_read2_b64 v[208:211], v176 offset0:28 offset1:163
	ds_read2_b64 v[252:255], v175 offset0:42 offset1:177
	ds_read2_b64 v[212:215], v99 offset0:70 offset1:205
	ds_read2_b64 v[8:11], v207 offset0:84 offset1:219
	ds_read2_b64 v[216:219], v71 offset0:112 offset1:247
	ds_read2_b64 v[4:7], v171 offset0:62 offset1:197
	ds_read2_b64 v[220:223], v40 offset0:26 offset1:161
	ds_read2_b64 v[0:3], v245 offset0:40 offset1:175
	ds_read2_b64 v[224:227], v177 offset0:68 offset1:203
	s_waitcnt lgkmcnt(4)
	v_mov_b32_e32 v20, v216
	v_mov_b32_e32 v22, v212
	s_waitcnt lgkmcnt(2)
	v_mov_b32_e32 v21, v220
	v_pk_add_f32 v[24:25], v[254:255], v[10:11] neg_lo:[0,1] neg_hi:[0,1]
	s_waitcnt lgkmcnt(0)
	v_pk_add_f32 v[18:19], v[212:213], v[224:225]
	v_mov_b32_e32 v23, v224
	v_fma_f32 v47, -0.5, v18, v208
	v_pk_add_f32 v[20:21], v[20:21], v[22:23] neg_lo:[0,1] neg_hi:[0,1]
	v_fma_f32 v55, -0.5, v19, v209
	v_mov_b32_e32 v18, v217
	v_mov_b32_e32 v19, v221
	;; [unrolled: 1-line block ×4, first 2 shown]
	v_pk_add_f32 v[18:19], v[18:19], v[22:23] neg_lo:[0,1] neg_hi:[0,1]
	v_pk_add_f32 v[22:23], v[10:11], v[6:7] neg_lo:[0,1] neg_hi:[0,1]
	v_add_f32_e32 v59, v18, v19
	v_pk_add_f32 v[18:19], v[10:11], v[6:7]
	v_pk_add_f32 v[32:33], v[2:3], v[6:7] neg_lo:[0,1] neg_hi:[0,1]
	v_pk_fma_f32 v[26:27], v[18:19], 0.5, v[14:15] op_sel_hi:[1,0,1] neg_lo:[1,0,0] neg_hi:[1,0,0]
	v_pk_add_f32 v[18:19], v[254:255], v[2:3] neg_lo:[0,1] neg_hi:[0,1]
	v_pk_mul_f32 v[30:31], v[22:23], s[8:9] op_sel_hi:[1,0]
	v_pk_mul_f32 v[28:29], v[18:19], s[4:5] op_sel_hi:[1,0]
	v_pk_add_f32 v[24:25], v[24:25], v[32:33]
	v_pk_add_f32 v[32:33], v[26:27], v[28:29] op_sel:[0,1] op_sel_hi:[1,0] neg_lo:[0,1] neg_hi:[0,1]
	v_pk_add_f32 v[26:27], v[26:27], v[28:29] op_sel:[0,1] op_sel_hi:[1,0]
	v_pk_add_f32 v[34:35], v[32:33], v[30:31] op_sel:[0,1] op_sel_hi:[1,0] neg_lo:[0,1] neg_hi:[0,1]
	v_pk_add_f32 v[28:29], v[26:27], v[30:31] op_sel:[0,1] op_sel_hi:[1,0]
	v_pk_add_f32 v[30:31], v[216:217], v[220:221]
	v_pk_add_f32 v[32:33], v[212:213], v[224:225] neg_lo:[0,1] neg_hi:[0,1]
	v_pk_fma_f32 v[30:31], v[30:31], 0.5, v[208:209] op_sel_hi:[1,0,1] neg_lo:[1,0,0] neg_hi:[1,0,0]
	v_pk_mul_f32 v[36:37], v[32:33], s[4:5] op_sel_hi:[1,0]
	v_pk_add_f32 v[40:41], v[216:217], v[220:221] neg_lo:[0,1] neg_hi:[0,1]
	v_pk_add_f32 v[38:39], v[30:31], v[36:37] op_sel:[0,1] op_sel_hi:[1,0]
	v_pk_mul_f32 v[42:43], v[40:41], s[8:9] op_sel_hi:[1,0]
	v_pk_add_f32 v[76:77], v[212:213], v[216:217] neg_lo:[0,1] neg_hi:[0,1]
	v_pk_add_f32 v[78:79], v[224:225], v[220:221] neg_lo:[0,1] neg_hi:[0,1]
	v_mov_b32_e32 v82, v33
	v_mov_b32_e32 v83, v41
	v_pk_add_f32 v[30:31], v[30:31], v[36:37] op_sel:[0,1] op_sel_hi:[1,0] neg_lo:[0,1] neg_hi:[0,1]
	v_pk_add_f32 v[38:39], v[42:43], v[38:39] op_sel:[1,0] op_sel_hi:[0,1]
	v_pk_add_f32 v[76:77], v[76:77], v[78:79]
	v_pk_mul_f32 v[82:83], v[82:83], s[18:19]
	v_pk_add_f32 v[30:31], v[30:31], v[42:43] op_sel:[0,1] op_sel_hi:[1,0] neg_lo:[0,1] neg_hi:[0,1]
	v_mov_b32_e32 v27, v29
	v_pk_fma_f32 v[78:79], v[76:77], s[2:3], v[38:39] op_sel_hi:[1,0,1]
	v_add_f32_e32 v29, v83, v47
	v_mov_b32_e32 v38, v30
	v_mov_b32_e32 v41, v32
	s_mov_b32 s5, s8
	v_mov_b32_e32 v26, v34
	v_sub_f32_e32 v34, v29, v82
	v_sub_f32_e32 v29, v47, v83
	v_pk_fma_f32 v[36:37], v[76:77], s[2:3], v[38:39] op_sel_hi:[1,0,1]
	v_pk_fma_f32 v[38:39], v[76:77], s[2:3], v[30:31] op_sel_hi:[1,0,1]
	v_pk_mul_f32 v[30:31], v[40:41], s[4:5]
	v_add_f32_e32 v82, v82, v29
	v_sub_f32_e32 v29, v55, v30
	v_add_f32_e32 v32, v31, v29
	v_add_f32_e32 v29, v30, v55
	v_pk_add_f32 v[16:17], v[14:15], v[254:255]
	v_sub_f32_e32 v40, v29, v31
	v_pk_mul_f32 v[30:31], v[36:37], s[8:9] op_sel_hi:[1,0]
	v_pk_add_f32 v[16:17], v[16:17], v[10:11]
	v_pk_fma_f32 v[42:43], v[36:37], s[16:17], v[30:31] op_sel:[0,0,1] op_sel_hi:[1,0,0] neg_lo:[0,0,1] neg_hi:[0,0,1]
	v_pk_fma_f32 v[30:31], v[36:37], s[16:17], v[30:31] op_sel:[0,0,1] op_sel_hi:[1,0,0]
	v_pk_add_f32 v[16:17], v[16:17], v[6:7]
	v_mov_b32_e32 v43, v31
	v_pk_add_f32 v[30:31], v[254:255], v[2:3]
	v_pk_add_f32 v[16:17], v[16:17], v[2:3]
	v_pk_fma_f32 v[14:15], v[30:31], 0.5, v[14:15] op_sel_hi:[1,0,1] neg_lo:[1,0,0] neg_hi:[1,0,0]
	v_pk_add_f32 v[10:11], v[10:11], v[254:255] neg_lo:[0,1] neg_hi:[0,1]
	v_pk_add_f32 v[2:3], v[6:7], v[2:3] neg_lo:[0,1] neg_hi:[0,1]
	v_pk_mul_f32 v[6:7], v[22:23], s[4:5] op_sel_hi:[1,0]
	v_pk_add_f32 v[2:3], v[10:11], v[2:3]
	v_pk_mul_f32 v[10:11], v[18:19], s[8:9] op_sel_hi:[1,0]
	v_pk_add_f32 v[18:19], v[14:15], v[6:7] op_sel:[0,1] op_sel_hi:[1,0]
	v_pk_add_f32 v[6:7], v[14:15], v[6:7] op_sel:[0,1] op_sel_hi:[1,0] neg_lo:[0,1] neg_hi:[0,1]
	v_add_f32_e32 v51, v20, v21
	v_pk_add_f32 v[6:7], v[6:7], v[10:11] op_sel:[0,1] op_sel_hi:[1,0]
	v_pk_add_f32 v[10:11], v[18:19], v[10:11] op_sel:[0,1] op_sel_hi:[1,0] neg_lo:[0,1] neg_hi:[0,1]
	v_fmac_f32_e32 v32, 0x3e9e377a, v59
	v_mov_b32_e32 v14, v10
	v_mov_b32_e32 v15, v7
	v_pk_fma_f32 v[26:27], v[24:25], s[2:3], v[26:27] op_sel_hi:[1,0,1]
	v_fmac_f32_e32 v34, 0x3e9e377a, v51
	v_pk_fma_f32 v[14:15], v[2:3], s[2:3], v[14:15] op_sel_hi:[1,0,1]
	s_mov_b32 s3, s4
	v_pk_mul_f32 v[18:19], v[32:33], s[6:7] op_sel_hi:[0,1]
	v_fmac_f32_e32 v40, 0x3e9e377a, v59
	v_pk_fma_f32 v[36:37], v[34:35], s[2:3], v[18:19] neg_lo:[0,0,1] neg_hi:[0,0,1]
	v_pk_fma_f32 v[18:19], v[34:35], s[2:3], v[18:19] op_sel_hi:[0,1,1]
	v_fmac_f32_e32 v82, 0x3e9e377a, v51
	v_mov_b32_e32 v37, v19
	v_pk_mul_f32 v[18:19], v[40:41], s[6:7] op_sel_hi:[0,1]
	v_mov_b32_e32 v7, v11
	ds_read2_b64 v[248:251], v179 offset0:14 offset1:149
	ds_read2_b64 v[240:243], v173 offset0:56 offset1:191
	;; [unrolled: 1-line block ×5, first 2 shown]
	v_pk_fma_f32 v[40:41], v[82:83], s[14:15], v[18:19] op_sel_hi:[0,1,1] neg_lo:[0,0,1] neg_hi:[0,0,1]
	v_pk_fma_f32 v[2:3], v[2:3], s[2:3], v[6:7] op_sel_hi:[1,0,1]
	v_pk_add_f32 v[230:231], v[26:27], v[42:43]
	v_pk_add_f32 v[32:33], v[2:3], v[40:41]
	v_pk_add_f32 v[22:23], v[26:27], v[42:43] neg_lo:[0,1] neg_hi:[0,1]
	v_pk_add_f32 v[26:27], v[2:3], v[40:41] neg_lo:[0,1] neg_hi:[0,1]
	s_waitcnt lgkmcnt(3)
	v_pk_add_f32 v[2:3], v[248:249], v[240:241]
	v_pk_add_f32 v[20:21], v[208:209], v[212:213]
	v_mov_b32_e32 v29, v35
	v_pk_mul_f32 v[10:11], v[38:39], s[8:9] op_sel:[1,0]
	s_waitcnt lgkmcnt(2)
	v_pk_add_f32 v[2:3], v[2:3], v[244:245]
	v_pk_add_f32 v[20:21], v[20:21], v[216:217]
	v_pk_fma_f32 v[6:7], v[24:25], s[2:3], v[28:29] op_sel_hi:[1,0,1]
	v_pk_fma_f32 v[10:11], v[78:79], s[12:13], v[10:11] op_sel_hi:[0,1,1] neg_lo:[0,0,1] neg_hi:[0,0,1]
	s_waitcnt lgkmcnt(1)
	v_pk_add_f32 v[2:3], v[2:3], v[232:233]
	v_pk_add_f32 v[20:21], v[20:21], v[220:221]
	;; [unrolled: 1-line block ×3, first 2 shown]
	v_pk_add_f32 v[28:29], v[6:7], v[10:11] neg_lo:[0,1] neg_hi:[0,1]
	s_waitcnt lgkmcnt(0)
	v_pk_add_f32 v[76:77], v[2:3], v[236:237]
	v_pk_add_f32 v[2:3], v[214:215], v[226:227]
	v_mov_b32_e32 v6, v218
	v_mov_b32_e32 v7, v222
	;; [unrolled: 1-line block ×4, first 2 shown]
	v_pk_add_f32 v[20:21], v[20:21], v[224:225]
	v_fma_f32 v47, -0.5, v2, v210
	v_pk_add_f32 v[6:7], v[6:7], v[10:11] neg_lo:[0,1] neg_hi:[0,1]
	v_fma_f32 v39, -0.5, v3, v211
	v_mov_b32_e32 v2, v219
	v_mov_b32_e32 v3, v223
	;; [unrolled: 1-line block ×4, first 2 shown]
	v_pk_add_f32 v[228:229], v[16:17], v[20:21]
	v_pk_add_f32 v[30:31], v[14:15], v[36:37]
	v_pk_add_f32 v[20:21], v[16:17], v[20:21] neg_lo:[0,1] neg_hi:[0,1]
	v_pk_add_f32 v[24:25], v[14:15], v[36:37] neg_lo:[0,1] neg_hi:[0,1]
	;; [unrolled: 1-line block ×3, first 2 shown]
	v_mov_b32_e32 v14, v246
	v_mov_b32_e32 v15, v234
	;; [unrolled: 1-line block ×4, first 2 shown]
	v_add_f32_e32 v51, v2, v3
	v_pk_add_f32 v[2:3], v[12:13], v[252:253]
	v_pk_add_f32 v[14:15], v[14:15], v[16:17] neg_lo:[0,1] neg_hi:[0,1]
	v_pk_add_f32 v[2:3], v[2:3], v[8:9]
	v_add_f32_e32 v59, v14, v15
	v_pk_add_f32 v[14:15], v[250:251], v[242:243]
	v_pk_add_f32 v[2:3], v[2:3], v[4:5]
	;; [unrolled: 1-line block ×6, first 2 shown]
	v_fma_f32 v38, -0.5, v2, v250
	v_pk_add_f32 v[212:213], v[14:15], v[238:239]
	v_fma_f32 v63, -0.5, v3, v251
	v_mov_b32_e32 v2, v247
	v_mov_b32_e32 v3, v235
	;; [unrolled: 1-line block ×4, first 2 shown]
	v_pk_add_f32 v[2:3], v[2:3], v[14:15] neg_lo:[0,1] neg_hi:[0,1]
	v_pk_add_f32 v[216:217], v[252:253], v[0:1] neg_lo:[0,1] neg_hi:[0,1]
	v_add_f32_e32 v67, v2, v3
	v_pk_add_f32 v[2:3], v[8:9], v[4:5]
	v_pk_mul_f32 v[34:35], v[216:217], s[4:5] op_sel_hi:[1,0]
	v_pk_fma_f32 v[16:17], v[2:3], 0.5, v[12:13] op_sel_hi:[1,0,1] neg_lo:[1,0,0] neg_hi:[1,0,0]
	v_pk_add_f32 v[220:221], v[8:9], v[4:5] neg_lo:[0,1] neg_hi:[0,1]
	v_pk_add_f32 v[36:37], v[252:253], v[8:9] neg_lo:[0,1] neg_hi:[0,1]
	;; [unrolled: 1-line block ×3, first 2 shown]
	v_pk_mul_f32 v[2:3], v[220:221], s[8:9] op_sel_hi:[1,0]
	v_pk_add_f32 v[224:225], v[36:37], v[40:41]
	v_pk_add_f32 v[36:37], v[16:17], v[34:35] op_sel:[0,1] op_sel_hi:[1,0] neg_lo:[0,1] neg_hi:[0,1]
	v_pk_add_f32 v[16:17], v[16:17], v[34:35] op_sel:[0,1] op_sel_hi:[1,0]
	v_pk_add_f32 v[78:79], v[246:247], v[234:235] neg_lo:[0,1] neg_hi:[0,1]
	v_pk_add_f32 v[254:255], v[16:17], v[2:3] op_sel:[0,1] op_sel_hi:[1,0]
	v_pk_add_f32 v[2:3], v[36:37], v[2:3] op_sel:[0,1] op_sel_hi:[1,0] neg_lo:[0,1] neg_hi:[0,1]
	v_mov_b32_e32 v17, v255
	v_mov_b32_e32 v16, v2
	v_pk_fma_f32 v[42:43], v[224:225], s[2:3], v[16:17] op_sel_hi:[1,0,1]
	v_pk_add_f32 v[16:17], v[246:247], v[234:235]
	v_pk_add_f32 v[36:37], v[242:243], v[238:239] neg_lo:[0,1] neg_hi:[0,1]
	v_pk_fma_f32 v[16:17], v[16:17], 0.5, v[250:251] op_sel_hi:[1,0,1] neg_lo:[1,0,0] neg_hi:[1,0,0]
	v_pk_mul_f32 v[40:41], v[36:37], s[4:5] op_sel_hi:[1,0]
	v_pk_mul_f32 v[82:83], v[78:79], s[8:9] op_sel_hi:[1,0]
	v_pk_add_f32 v[34:35], v[16:17], v[40:41] op_sel:[0,1] op_sel_hi:[1,0]
	v_pk_add_f32 v[124:125], v[238:239], v[234:235] neg_lo:[0,1] neg_hi:[0,1]
	v_pk_add_f32 v[84:85], v[82:83], v[34:35] op_sel:[1,0] op_sel_hi:[0,1]
	v_pk_add_f32 v[34:35], v[242:243], v[246:247] neg_lo:[0,1] neg_hi:[0,1]
	v_pk_add_f32 v[16:17], v[16:17], v[40:41] op_sel:[0,1] op_sel_hi:[1,0] neg_lo:[0,1] neg_hi:[0,1]
	v_pk_add_f32 v[124:125], v[34:35], v[124:125]
	v_mov_b32_e32 v34, v79
	v_mov_b32_e32 v35, v37
	v_pk_add_f32 v[16:17], v[16:17], v[82:83] op_sel:[0,1] op_sel_hi:[1,0] neg_lo:[0,1] neg_hi:[0,1]
	v_mov_b32_e32 v37, v78
	v_pk_fma_f32 v[234:235], v[124:125], s[2:3], v[84:85] op_sel_hi:[1,0,1]
	v_pk_mul_f32 v[132:133], v[34:35], s[4:5]
	v_mov_b32_e32 v84, v16
	v_pk_fma_f32 v[40:41], v[124:125], s[2:3], v[16:17] op_sel_hi:[1,0,1]
	v_pk_mul_f32 v[16:17], v[36:37], s[18:19]
	v_add_f32_e32 v2, v132, v38
	v_pk_fma_f32 v[82:83], v[124:125], s[2:3], v[84:85] op_sel_hi:[1,0,1]
	v_sub_f32_e32 v35, v63, v17
	v_add_f32_e32 v17, v17, v63
	v_sub_f32_e32 v34, v2, v133
	v_sub_f32_e32 v2, v38, v132
	v_add_f32_e32 v36, v16, v35
	v_sub_f32_e32 v38, v17, v16
	v_pk_mul_f32 v[16:17], v[82:83], s[8:9] op_sel_hi:[1,0]
	v_pk_add_f32 v[14:15], v[10:11], v[212:213]
	v_pk_fma_f32 v[78:79], v[82:83], s[16:17], v[16:17] op_sel:[0,0,1] op_sel_hi:[1,0,0] neg_lo:[0,0,1] neg_hi:[0,0,1]
	v_pk_fma_f32 v[16:17], v[82:83], s[16:17], v[16:17] op_sel:[0,0,1] op_sel_hi:[1,0,0]
	s_nop 0
	v_mov_b32_e32 v79, v17
	v_pk_add_f32 v[16:17], v[42:43], v[78:79]
	s_barrier
	ds_write_b128 v126, v[14:17]
	v_pk_add_f32 v[14:15], v[252:253], v[0:1]
	v_pk_add_f32 v[8:9], v[8:9], v[252:253] neg_lo:[0,1] neg_hi:[0,1]
	v_pk_fma_f32 v[12:13], v[14:15], 0.5, v[12:13] op_sel_hi:[1,0,1] neg_lo:[1,0,0] neg_hi:[1,0,0]
	v_pk_add_f32 v[0:1], v[4:5], v[0:1] neg_lo:[0,1] neg_hi:[0,1]
	v_pk_mul_f32 v[4:5], v[220:221], s[4:5] op_sel_hi:[1,0]
	v_pk_add_f32 v[0:1], v[8:9], v[0:1]
	v_pk_mul_f32 v[8:9], v[216:217], s[8:9] op_sel_hi:[1,0]
	v_pk_add_f32 v[14:15], v[12:13], v[4:5] op_sel:[0,1] op_sel_hi:[1,0]
	v_pk_add_f32 v[4:5], v[12:13], v[4:5] op_sel:[0,1] op_sel_hi:[1,0] neg_lo:[0,1] neg_hi:[0,1]
	v_fmac_f32_e32 v36, 0x3e9e377a, v67
	v_pk_add_f32 v[4:5], v[4:5], v[8:9] op_sel:[0,1] op_sel_hi:[1,0]
	v_pk_add_f32 v[8:9], v[14:15], v[8:9] op_sel:[0,1] op_sel_hi:[1,0] neg_lo:[0,1] neg_hi:[0,1]
	v_mov_b32_e32 v13, v5
	v_mov_b32_e32 v12, v8
	v_fmac_f32_e32 v34, 0x3e9e377a, v59
	v_add_f32_e32 v2, v133, v2
	v_fmac_f32_e32 v38, 0x3e9e377a, v67
	v_pk_fma_f32 v[16:17], v[0:1], s[2:3], v[12:13] op_sel_hi:[1,0,1]
	v_pk_mul_f32 v[12:13], v[36:37], s[6:7] op_sel_hi:[0,1]
	v_fmac_f32_e32 v2, 0x3e9e377a, v59
	v_pk_fma_f32 v[36:37], v[34:35], s[2:3], v[12:13] neg_lo:[0,0,1] neg_hi:[0,0,1]
	v_pk_fma_f32 v[12:13], v[34:35], s[2:3], v[12:13] op_sel_hi:[0,1,1]
	v_pk_mul_f32 v[14:15], v[38:39], s[6:7] op_sel_hi:[0,1]
	v_mov_b32_e32 v5, v9
	v_mov_b32_e32 v37, v13
	v_pk_fma_f32 v[34:35], v[2:3], s[14:15], v[14:15] op_sel_hi:[0,1,1] neg_lo:[0,0,1] neg_hi:[0,0,1]
	v_pk_fma_f32 v[4:5], v[0:1], s[2:3], v[4:5] op_sel_hi:[1,0,1]
	v_pk_add_f32 v[12:13], v[16:17], v[36:37]
	v_pk_add_f32 v[14:15], v[4:5], v[34:35]
	v_mov_b32_e32 v255, v3
	v_pk_mul_f32 v[0:1], v[40:41], s[8:9] op_sel:[1,0]
	ds_write_b128 v126, v[12:15] offset:16
	v_pk_fma_f32 v[8:9], v[224:225], s[2:3], v[254:255] op_sel_hi:[1,0,1]
	v_pk_fma_f32 v[12:13], v[234:235], s[12:13], v[0:1] op_sel_hi:[0,1,1] neg_lo:[0,0,1] neg_hi:[0,0,1]
	v_pk_add_f32 v[0:1], v[8:9], v[12:13]
	v_pk_add_f32 v[2:3], v[10:11], v[212:213] neg_lo:[0,1] neg_hi:[0,1]
	ds_write_b128 v126, v[0:3] offset:32
	v_pk_add_f32 v[0:1], v[42:43], v[78:79] neg_lo:[0,1] neg_hi:[0,1]
	v_pk_add_f32 v[2:3], v[16:17], v[36:37] neg_lo:[0,1] neg_hi:[0,1]
	ds_write_b128 v126, v[0:3] offset:48
	v_pk_add_f32 v[0:1], v[4:5], v[34:35] neg_lo:[0,1] neg_hi:[0,1]
	v_pk_add_f32 v[2:3], v[8:9], v[12:13] neg_lo:[0,1] neg_hi:[0,1]
	ds_write_b128 v126, v[0:3] offset:64
	ds_write_b128 v87, v[228:231]
	ds_write_b128 v87, v[30:33] offset:16
	ds_write_b128 v87, v[18:21] offset:32
	;; [unrolled: 1-line block ×4, first 2 shown]
	v_pk_add_f32 v[0:1], v[244:245], v[232:233]
	v_pk_add_f32 v[22:23], v[240:241], v[236:237] neg_lo:[0,1] neg_hi:[0,1]
	v_pk_fma_f32 v[0:1], v[0:1], 0.5, v[248:249] op_sel_hi:[1,0,1] neg_lo:[1,0,0] neg_hi:[1,0,0]
	v_pk_mul_f32 v[2:3], v[22:23], s[4:5] op_sel_hi:[1,0]
	v_pk_add_f32 v[18:19], v[214:215], v[226:227] neg_lo:[0,1] neg_hi:[0,1]
	v_pk_add_f32 v[12:13], v[0:1], v[2:3] op_sel:[0,1] op_sel_hi:[1,0] neg_lo:[0,1] neg_hi:[0,1]
	v_pk_add_f32 v[0:1], v[0:1], v[2:3] op_sel:[0,1] op_sel_hi:[1,0]
	v_pk_add_f32 v[2:3], v[218:219], v[222:223]
	v_pk_add_f32 v[24:25], v[244:245], v[232:233] neg_lo:[0,1] neg_hi:[0,1]
	v_pk_fma_f32 v[14:15], v[2:3], 0.5, v[210:211] op_sel_hi:[1,0,1] neg_lo:[1,0,0] neg_hi:[1,0,0]
	v_pk_mul_f32 v[16:17], v[18:19], s[4:5] op_sel_hi:[1,0]
	v_pk_add_f32 v[20:21], v[218:219], v[222:223] neg_lo:[0,1] neg_hi:[0,1]
	v_pk_mul_f32 v[10:11], v[24:25], s[8:9] op_sel_hi:[1,0]
	v_pk_add_f32 v[4:5], v[240:241], v[244:245] neg_lo:[0,1] neg_hi:[0,1]
	v_pk_add_f32 v[8:9], v[236:237], v[232:233] neg_lo:[0,1] neg_hi:[0,1]
	v_pk_add_f32 v[2:3], v[14:15], v[16:17] op_sel:[0,1] op_sel_hi:[1,0]
	v_pk_mul_f32 v[26:27], v[20:21], s[8:9] op_sel_hi:[1,0]
	v_pk_add_f32 v[4:5], v[4:5], v[8:9]
	v_pk_add_f32 v[8:9], v[0:1], v[10:11] op_sel:[0,1] op_sel_hi:[1,0]
	v_pk_add_f32 v[10:11], v[12:13], v[10:11] op_sel:[0,1] op_sel_hi:[1,0] neg_lo:[0,1] neg_hi:[0,1]
	v_pk_add_f32 v[28:29], v[26:27], v[2:3] op_sel:[1,0] op_sel_hi:[0,1]
	v_pk_add_f32 v[2:3], v[214:215], v[218:219] neg_lo:[0,1] neg_hi:[0,1]
	v_pk_add_f32 v[12:13], v[226:227], v[222:223] neg_lo:[0,1] neg_hi:[0,1]
	v_pk_add_f32 v[14:15], v[14:15], v[16:17] op_sel:[0,1] op_sel_hi:[1,0] neg_lo:[0,1] neg_hi:[0,1]
	v_pk_add_f32 v[30:31], v[2:3], v[12:13]
	v_mov_b32_e32 v2, v21
	v_mov_b32_e32 v3, v19
	v_pk_mul_f32 v[32:33], v[2:3], s[4:5]
	v_pk_add_f32 v[14:15], v[14:15], v[26:27] op_sel:[0,1] op_sel_hi:[1,0] neg_lo:[0,1] neg_hi:[0,1]
	v_mov_b32_e32 v19, v20
	v_pk_fma_f32 v[12:13], v[30:31], s[2:3], v[28:29] op_sel_hi:[1,0,1]
	v_sub_f32_e32 v3, v47, v32
	v_mov_b32_e32 v28, v14
	v_pk_fma_f32 v[16:17], v[30:31], s[2:3], v[14:15] op_sel_hi:[1,0,1]
	v_pk_mul_f32 v[14:15], v[18:19], s[18:19]
	v_mov_b32_e32 v0, v10
	v_add_f32_e32 v10, v33, v3
	v_pk_fma_f32 v[26:27], v[30:31], s[2:3], v[28:29] op_sel_hi:[1,0,1]
	v_sub_f32_e32 v3, v39, v15
	v_add_f32_e32 v20, v14, v3
	v_add_f32_e32 v3, v15, v39
	v_pk_mul_f32 v[28:29], v[26:27], s[8:9] op_sel_hi:[1,0]
	v_sub_f32_e32 v18, v3, v14
	v_pk_fma_f32 v[14:15], v[26:27], s[16:17], v[28:29] op_sel:[0,0,1] op_sel_hi:[1,0,0] neg_lo:[0,0,1] neg_hi:[0,0,1]
	v_pk_fma_f32 v[26:27], v[26:27], s[16:17], v[28:29] op_sel:[0,0,1] op_sel_hi:[1,0,0]
	v_add_f32_e32 v2, v32, v47
	v_mov_b32_e32 v15, v27
	v_pk_add_f32 v[26:27], v[240:241], v[236:237]
	v_add_f32_e32 v55, v6, v7
	v_sub_f32_e32 v2, v2, v33
	v_fmac_f32_e32 v20, 0x3e9e377a, v51
	v_pk_fma_f32 v[26:27], v[26:27], 0.5, v[248:249] op_sel_hi:[1,0,1] neg_lo:[1,0,0] neg_hi:[1,0,0]
	v_pk_add_f32 v[28:29], v[244:245], v[240:241] neg_lo:[0,1] neg_hi:[0,1]
	v_pk_add_f32 v[30:31], v[232:233], v[236:237] neg_lo:[0,1] neg_hi:[0,1]
	v_pk_mul_f32 v[24:25], v[24:25], s[4:5] op_sel_hi:[1,0]
	v_fmac_f32_e32 v2, 0x3e9e377a, v55
	v_pk_add_f32 v[28:29], v[28:29], v[30:31]
	v_pk_mul_f32 v[22:23], v[22:23], s[8:9] op_sel_hi:[1,0]
	v_pk_add_f32 v[30:31], v[26:27], v[24:25] op_sel:[0,1] op_sel_hi:[1,0]
	v_pk_add_f32 v[24:25], v[26:27], v[24:25] op_sel:[0,1] op_sel_hi:[1,0] neg_lo:[0,1] neg_hi:[0,1]
	v_pk_mul_f32 v[20:21], v[20:21], s[6:7] op_sel_hi:[0,1]
	v_pk_add_f32 v[6:7], v[210:211], v[214:215]
	v_fmac_f32_e32 v18, 0x3e9e377a, v51
	v_pk_add_f32 v[24:25], v[24:25], v[22:23] op_sel:[0,1] op_sel_hi:[1,0]
	v_pk_add_f32 v[22:23], v[30:31], v[22:23] op_sel:[0,1] op_sel_hi:[1,0] neg_lo:[0,1] neg_hi:[0,1]
	v_pk_fma_f32 v[30:31], v[2:3], s[2:3], v[20:21] neg_lo:[0,0,1] neg_hi:[0,0,1]
	v_pk_fma_f32 v[2:3], v[2:3], s[2:3], v[20:21] op_sel_hi:[0,1,1]
	v_pk_add_f32 v[6:7], v[6:7], v[218:219]
	v_fmac_f32_e32 v10, 0x3e9e377a, v55
	v_mov_b32_e32 v31, v3
	v_pk_mul_f32 v[2:3], v[18:19], s[6:7] op_sel_hi:[0,1]
	v_pk_add_f32 v[6:7], v[6:7], v[222:223]
	v_mov_b32_e32 v1, v9
	v_pk_fma_f32 v[18:19], v[10:11], s[14:15], v[2:3] op_sel_hi:[0,1,1] neg_lo:[0,0,1] neg_hi:[0,0,1]
	v_mov_b32_e32 v9, v11
	v_pk_mul_f32 v[2:3], v[16:17], s[8:9] op_sel:[1,0]
	v_pk_add_f32 v[6:7], v[6:7], v[226:227]
	v_mov_b32_e32 v26, v22
	v_mov_b32_e32 v27, v25
	v_pk_fma_f32 v[8:9], v[4:5], s[2:3], v[8:9] op_sel_hi:[1,0,1]
	v_pk_fma_f32 v[10:11], v[12:13], s[12:13], v[2:3] op_sel_hi:[0,1,1] neg_lo:[0,0,1] neg_hi:[0,0,1]
	v_pk_fma_f32 v[0:1], v[4:5], s[2:3], v[0:1] op_sel_hi:[1,0,1]
	v_pk_fma_f32 v[26:27], v[28:29], s[2:3], v[26:27] op_sel_hi:[1,0,1]
	v_mov_b32_e32 v25, v23
	v_pk_add_f32 v[2:3], v[8:9], v[10:11]
	v_pk_add_f32 v[4:5], v[76:77], v[6:7] neg_lo:[0,1] neg_hi:[0,1]
	v_pk_add_f32 v[210:211], v[0:1], v[14:15]
	v_pk_fma_f32 v[24:25], v[28:29], s[2:3], v[24:25] op_sel_hi:[1,0,1]
	ds_write_b128 v86, v[2:5] offset:32
	v_pk_add_f32 v[0:1], v[0:1], v[14:15] neg_lo:[0,1] neg_hi:[0,1]
	v_pk_add_f32 v[2:3], v[26:27], v[30:31] neg_lo:[0,1] neg_hi:[0,1]
	v_pk_add_f32 v[208:209], v[76:77], v[6:7]
	v_pk_add_f32 v[20:21], v[26:27], v[30:31]
	;; [unrolled: 1-line block ×3, first 2 shown]
	ds_write_b128 v86, v[0:3] offset:48
	v_pk_add_f32 v[0:1], v[24:25], v[18:19] neg_lo:[0,1] neg_hi:[0,1]
	v_pk_add_f32 v[2:3], v[8:9], v[10:11] neg_lo:[0,1] neg_hi:[0,1]
	ds_write_b128 v86, v[208:211]
	ds_write_b128 v86, v[20:23] offset:16
	ds_write_b128 v86, v[0:3] offset:64
	s_waitcnt lgkmcnt(0)
	s_barrier
	ds_read2_b64 v[208:211], v176 offset0:28 offset1:163
	ds_read2_b64 v[0:3], v99 offset0:70 offset1:205
	ds_read2_b64 v[4:7], v71 offset0:112 offset1:247
	ds_read2_b64 v[16:19], v103 offset0:26 offset1:161
	ds_read2_b64 v[20:23], v177 offset0:68 offset1:203
	v_accvgpr_read_b32 v30, a88
	s_waitcnt lgkmcnt(3)
	v_pk_mul_f32 v[10:11], v[56:57], v[2:3] op_sel:[1,0]
	v_accvgpr_read_b32 v31, a89
	v_pk_fma_f32 v[8:9], v[56:57], v[2:3], v[10:11] op_sel:[0,0,1] op_sel_hi:[1,1,0]
	v_pk_fma_f32 v[2:3], v[56:57], v[2:3], v[10:11] op_sel:[0,0,1] op_sel_hi:[0,1,0] neg_lo:[0,0,1] neg_hi:[0,0,1]
	v_accvgpr_read_b32 v2, a72
	v_mov_b32_e32 v9, v3
	s_waitcnt lgkmcnt(2)
	v_pk_mul_f32 v[2:3], v[2:3], v[6:7] op_sel_hi:[0,1]
	v_pk_fma_f32 v[12:13], v[58:59], v[6:7], v[2:3] op_sel:[0,0,1] op_sel_hi:[1,1,0]
	v_pk_fma_f32 v[2:3], v[58:59], v[6:7], v[2:3] op_sel:[0,0,1] op_sel_hi:[0,1,0] neg_lo:[0,0,1] neg_hi:[0,0,1]
	v_mov_b32_e32 v13, v3
	s_waitcnt lgkmcnt(1)
	v_pk_mul_f32 v[2:3], v[48:49], v[18:19] op_sel:[1,0]
	v_pk_add_f32 v[6:7], v[8:9], v[12:13] neg_lo:[0,1] neg_hi:[0,1]
	v_pk_fma_f32 v[14:15], v[48:49], v[18:19], v[2:3] op_sel:[0,0,1] op_sel_hi:[1,1,0]
	v_pk_fma_f32 v[2:3], v[48:49], v[18:19], v[2:3] op_sel:[0,0,1] op_sel_hi:[0,1,0] neg_lo:[0,0,1] neg_hi:[0,0,1]
	v_accvgpr_read_b32 v2, a86
	v_mov_b32_e32 v15, v3
	s_waitcnt lgkmcnt(0)
	v_pk_mul_f32 v[2:3], v[2:3], v[22:23] op_sel_hi:[0,1]
	v_pk_fma_f32 v[18:19], v[50:51], v[22:23], v[2:3] op_sel:[0,0,1] op_sel_hi:[1,1,0]
	v_pk_fma_f32 v[2:3], v[50:51], v[22:23], v[2:3] op_sel:[0,0,1] op_sel_hi:[0,1,0] neg_lo:[0,0,1] neg_hi:[0,0,1]
	v_mov_b32_e32 v19, v3
	v_pk_add_f32 v[2:3], v[12:13], v[14:15]
	v_pk_add_f32 v[26:27], v[8:9], v[18:19] neg_lo:[0,1] neg_hi:[0,1]
	v_pk_fma_f32 v[2:3], v[2:3], 0.5, v[210:211] op_sel_hi:[1,0,1] neg_lo:[1,0,0] neg_hi:[1,0,0]
	v_pk_add_f32 v[10:11], v[18:19], v[14:15] neg_lo:[0,1] neg_hi:[0,1]
	v_pk_add_f32 v[170:171], v[12:13], v[14:15] neg_lo:[0,1] neg_hi:[0,1]
	v_pk_add_f32 v[36:37], v[6:7], v[10:11]
	v_pk_fma_f32 v[6:7], v[26:27], s[4:5], v[2:3] op_sel:[1,0,0] op_sel_hi:[0,0,1]
	v_pk_fma_f32 v[2:3], v[26:27], s[4:5], v[2:3] op_sel:[1,0,0] op_sel_hi:[0,0,1] neg_lo:[1,0,0] neg_hi:[1,0,0]
	v_pk_fma_f32 v[24:25], v[170:171], s[8:9], v[2:3] op_sel:[1,0,0] op_sel_hi:[0,0,1] neg_lo:[1,0,0] neg_hi:[1,0,0]
	v_pk_fma_f32 v[140:141], v[170:171], s[8:9], v[6:7] op_sel:[1,0,0] op_sel_hi:[0,0,1]
	v_mov_b32_e32 v2, v140
	v_mov_b32_e32 v3, v25
	v_pk_fma_f32 v[82:83], v[36:37], s[2:3], v[2:3] op_sel_hi:[1,0,1]
	v_pk_mul_f32 v[2:3], v[30:31], v[0:1] op_sel:[1,0]
	v_accvgpr_read_b32 v32, a90
	v_pk_fma_f32 v[28:29], v[30:31], v[0:1], v[2:3] op_sel:[0,0,1] op_sel_hi:[1,1,0]
	v_pk_fma_f32 v[0:1], v[30:31], v[0:1], v[2:3] op_sel:[0,0,1] op_sel_hi:[0,1,0] neg_lo:[0,0,1] neg_hi:[0,0,1]
	v_accvgpr_read_b32 v0, a92
	v_mov_b32_e32 v29, v1
	v_pk_mul_f32 v[0:1], v[0:1], v[4:5] op_sel_hi:[0,1]
	v_pk_fma_f32 v[30:31], v[32:33], v[4:5], v[0:1] op_sel:[0,0,1] op_sel_hi:[1,1,0]
	v_pk_fma_f32 v[0:1], v[32:33], v[4:5], v[0:1] op_sel:[0,0,1] op_sel_hi:[0,1,0] neg_lo:[0,0,1] neg_hi:[0,0,1]
	v_accvgpr_read_b32 v2, a74
	v_accvgpr_read_b32 v3, a75
	v_mov_b32_e32 v31, v1
	v_pk_mul_f32 v[0:1], v[2:3], v[16:17] op_sel:[1,0]
	v_accvgpr_read_b32 v4, a76
	v_pk_fma_f32 v[48:49], v[2:3], v[16:17], v[0:1] op_sel:[0,0,1] op_sel_hi:[1,1,0]
	v_pk_fma_f32 v[0:1], v[2:3], v[16:17], v[0:1] op_sel:[0,0,1] op_sel_hi:[0,1,0] neg_lo:[0,0,1] neg_hi:[0,0,1]
	v_accvgpr_read_b32 v0, a78
	v_mov_b32_e32 v49, v1
	v_pk_mul_f32 v[0:1], v[0:1], v[20:21] op_sel_hi:[0,1]
	v_pk_fma_f32 v[58:59], v[4:5], v[20:21], v[0:1] op_sel:[0,0,1] op_sel_hi:[1,1,0]
	v_pk_fma_f32 v[0:1], v[4:5], v[20:21], v[0:1] op_sel:[0,0,1] op_sel_hi:[0,1,0] neg_lo:[0,0,1] neg_hi:[0,0,1]
	v_mov_b32_e32 v59, v1
	v_pk_add_f32 v[0:1], v[30:31], v[48:49]
	v_pk_add_f32 v[50:51], v[28:29], v[58:59] neg_lo:[0,1] neg_hi:[0,1]
	v_pk_fma_f32 v[0:1], v[0:1], 0.5, v[208:209] op_sel_hi:[1,0,1] neg_lo:[1,0,0] neg_hi:[1,0,0]
	v_pk_add_f32 v[2:3], v[28:29], v[30:31] neg_lo:[0,1] neg_hi:[0,1]
	v_pk_add_f32 v[4:5], v[58:59], v[48:49] neg_lo:[0,1] neg_hi:[0,1]
	;; [unrolled: 1-line block ×3, first 2 shown]
	v_pk_add_f32 v[212:213], v[2:3], v[4:5]
	v_pk_fma_f32 v[2:3], v[50:51], s[4:5], v[0:1] op_sel:[1,0,0] op_sel_hi:[0,0,1]
	v_pk_fma_f32 v[0:1], v[50:51], s[4:5], v[0:1] op_sel:[1,0,0] op_sel_hi:[0,0,1] neg_lo:[1,0,0] neg_hi:[1,0,0]
	v_pk_fma_f32 v[214:215], v[56:57], s[8:9], v[0:1] op_sel:[1,0,0] op_sel_hi:[0,0,1] neg_lo:[1,0,0] neg_hi:[1,0,0]
	v_pk_fma_f32 v[216:217], v[56:57], s[8:9], v[2:3] op_sel:[1,0,0] op_sel_hi:[0,0,1]
	v_mov_b32_e32 v0, v216
	v_mov_b32_e32 v1, v215
	v_pk_fma_f32 v[42:43], v[212:213], s[2:3], v[0:1] op_sel_hi:[1,0,1]
	ds_read2_b64 v[0:3], v179 offset0:14 offset1:149
	ds_read2_b64 v[4:7], v173 offset0:56 offset1:191
	;; [unrolled: 1-line block ×5, first 2 shown]
	v_accvgpr_read_b32 v20, a94
	v_accvgpr_read_b32 v21, a95
	s_waitcnt lgkmcnt(3)
	v_pk_mul_f32 v[10:11], v[20:21], v[6:7] op_sel:[1,0]
	v_accvgpr_read_b32 v22, a96
	v_pk_fma_f32 v[218:219], v[20:21], v[6:7], v[10:11] op_sel:[0,0,1] op_sel_hi:[1,1,0]
	v_pk_fma_f32 v[6:7], v[20:21], v[6:7], v[10:11] op_sel:[0,0,1] op_sel_hi:[0,1,0] neg_lo:[0,0,1] neg_hi:[0,0,1]
	v_accvgpr_read_b32 v6, a98
	v_mov_b32_e32 v219, v7
	s_waitcnt lgkmcnt(2)
	v_pk_mul_f32 v[6:7], v[6:7], v[78:79] op_sel_hi:[0,1]
	v_pk_fma_f32 v[222:223], v[22:23], v[78:79], v[6:7] op_sel:[0,0,1] op_sel_hi:[1,1,0]
	v_pk_fma_f32 v[6:7], v[22:23], v[78:79], v[6:7] op_sel:[0,0,1] op_sel_hi:[0,1,0] neg_lo:[0,0,1] neg_hi:[0,0,1]
	v_accvgpr_read_b32 v20, a100
	v_accvgpr_read_b32 v21, a101
	v_mov_b32_e32 v223, v7
	s_waitcnt lgkmcnt(1)
	v_pk_mul_f32 v[6:7], v[20:21], v[86:87] op_sel:[1,0]
	v_accvgpr_read_b32 v22, a102
	v_pk_fma_f32 v[224:225], v[20:21], v[86:87], v[6:7] op_sel:[0,0,1] op_sel_hi:[1,1,0]
	v_pk_fma_f32 v[6:7], v[20:21], v[86:87], v[6:7] op_sel:[0,0,1] op_sel_hi:[0,1,0] neg_lo:[0,0,1] neg_hi:[0,0,1]
	v_accvgpr_read_b32 v6, a104
	v_mov_b32_e32 v225, v7
	s_waitcnt lgkmcnt(0)
	v_pk_mul_f32 v[6:7], v[6:7], v[126:127] op_sel_hi:[0,1]
	v_pk_fma_f32 v[228:229], v[22:23], v[126:127], v[6:7] op_sel:[0,0,1] op_sel_hi:[1,1,0]
	v_pk_fma_f32 v[6:7], v[22:23], v[126:127], v[6:7] op_sel:[0,0,1] op_sel_hi:[0,1,0] neg_lo:[0,0,1] neg_hi:[0,0,1]
	v_mov_b32_e32 v229, v7
	v_pk_add_f32 v[6:7], v[222:223], v[224:225]
	v_pk_add_f32 v[226:227], v[218:219], v[228:229] neg_lo:[0,1] neg_hi:[0,1]
	v_pk_fma_f32 v[6:7], v[6:7], 0.5, v[2:3] op_sel_hi:[1,0,1] neg_lo:[1,0,0] neg_hi:[1,0,0]
	v_pk_add_f32 v[10:11], v[218:219], v[222:223] neg_lo:[0,1] neg_hi:[0,1]
	v_pk_add_f32 v[16:17], v[228:229], v[224:225] neg_lo:[0,1] neg_hi:[0,1]
	;; [unrolled: 1-line block ×3, first 2 shown]
	v_pk_add_f32 v[232:233], v[10:11], v[16:17]
	v_pk_fma_f32 v[10:11], v[226:227], s[4:5], v[6:7] op_sel:[1,0,0] op_sel_hi:[0,0,1]
	v_pk_fma_f32 v[6:7], v[226:227], s[4:5], v[6:7] op_sel:[1,0,0] op_sel_hi:[0,0,1] neg_lo:[1,0,0] neg_hi:[1,0,0]
	v_pk_fma_f32 v[234:235], v[230:231], s[8:9], v[6:7] op_sel:[1,0,0] op_sel_hi:[0,0,1] neg_lo:[1,0,0] neg_hi:[1,0,0]
	v_pk_fma_f32 v[236:237], v[230:231], s[8:9], v[10:11] op_sel:[1,0,0] op_sel_hi:[0,0,1]
	v_accvgpr_read_b32 v20, a64
	v_mov_b32_e32 v6, v236
	v_mov_b32_e32 v7, v235
	v_accvgpr_read_b32 v21, a65
	v_pk_fma_f32 v[220:221], v[232:233], s[2:3], v[6:7] op_sel_hi:[1,0,1]
	v_pk_mul_f32 v[6:7], v[20:21], v[4:5] op_sel:[1,0]
	v_accvgpr_read_b32 v22, a66
	v_pk_fma_f32 v[238:239], v[20:21], v[4:5], v[6:7] op_sel:[0,0,1] op_sel_hi:[1,1,0]
	v_pk_fma_f32 v[4:5], v[20:21], v[4:5], v[6:7] op_sel:[0,0,1] op_sel_hi:[0,1,0] neg_lo:[0,0,1] neg_hi:[0,0,1]
	v_accvgpr_read_b32 v4, a106
	v_mov_b32_e32 v239, v5
	v_pk_mul_f32 v[4:5], v[4:5], v[76:77] op_sel_hi:[0,1]
	v_pk_fma_f32 v[240:241], v[22:23], v[76:77], v[4:5] op_sel:[0,0,1] op_sel_hi:[1,1,0]
	v_pk_fma_f32 v[4:5], v[22:23], v[76:77], v[4:5] op_sel:[0,0,1] op_sel_hi:[0,1,0] neg_lo:[0,0,1] neg_hi:[0,0,1]
	v_accvgpr_read_b32 v20, a80
	v_accvgpr_read_b32 v21, a81
	v_mov_b32_e32 v241, v5
	v_pk_mul_f32 v[4:5], v[20:21], v[84:85] op_sel:[1,0]
	v_accvgpr_read_b32 v22, a82
	v_pk_fma_f32 v[244:245], v[20:21], v[84:85], v[4:5] op_sel:[0,0,1] op_sel_hi:[1,1,0]
	v_pk_fma_f32 v[4:5], v[20:21], v[84:85], v[4:5] op_sel:[0,0,1] op_sel_hi:[0,1,0] neg_lo:[0,0,1] neg_hi:[0,0,1]
	v_accvgpr_read_b32 v4, a84
	v_mov_b32_e32 v245, v5
	v_pk_mul_f32 v[4:5], v[4:5], v[124:125] op_sel_hi:[0,1]
	v_pk_fma_f32 v[250:251], v[22:23], v[124:125], v[4:5] op_sel:[0,0,1] op_sel_hi:[1,1,0]
	v_pk_fma_f32 v[4:5], v[22:23], v[124:125], v[4:5] op_sel:[0,0,1] op_sel_hi:[0,1,0] neg_lo:[0,0,1] neg_hi:[0,0,1]
	v_mov_b32_e32 v251, v5
	v_pk_add_f32 v[4:5], v[240:241], v[244:245]
	v_pk_add_f32 v[246:247], v[238:239], v[250:251] neg_lo:[0,1] neg_hi:[0,1]
	v_pk_fma_f32 v[4:5], v[4:5], 0.5, v[0:1] op_sel_hi:[1,0,1] neg_lo:[1,0,0] neg_hi:[1,0,0]
	v_pk_add_f32 v[6:7], v[238:239], v[240:241] neg_lo:[0,1] neg_hi:[0,1]
	v_pk_add_f32 v[10:11], v[250:251], v[244:245] neg_lo:[0,1] neg_hi:[0,1]
	;; [unrolled: 1-line block ×3, first 2 shown]
	v_pk_add_f32 v[252:253], v[6:7], v[10:11]
	v_pk_fma_f32 v[6:7], v[246:247], s[4:5], v[4:5] op_sel:[1,0,0] op_sel_hi:[0,0,1]
	v_pk_fma_f32 v[4:5], v[246:247], s[4:5], v[4:5] op_sel:[1,0,0] op_sel_hi:[0,0,1] neg_lo:[1,0,0] neg_hi:[1,0,0]
	v_pk_fma_f32 v[254:255], v[248:249], s[8:9], v[4:5] op_sel:[1,0,0] op_sel_hi:[0,0,1] neg_lo:[1,0,0] neg_hi:[1,0,0]
	v_pk_fma_f32 v[16:17], v[248:249], s[8:9], v[6:7] op_sel:[1,0,0] op_sel_hi:[0,0,1]
	v_mov_b32_e32 v4, v16
	v_mov_b32_e32 v5, v255
	v_pk_fma_f32 v[242:243], v[252:253], s[2:3], v[4:5] op_sel_hi:[1,0,1]
	ds_read2_b64 v[4:7], v196 offset1:135
	ds_read2_b64 v[32:35], v175 offset0:42 offset1:177
	ds_read2_b64 v[38:41], v207 offset0:84 offset1:219
	;; [unrolled: 1-line block ×4, first 2 shown]
	v_accvgpr_read_b32 v84, a108
	v_accvgpr_read_b32 v85, a109
	s_waitcnt lgkmcnt(3)
	v_pk_mul_f32 v[10:11], v[84:85], v[34:35] op_sel:[1,0]
	v_accvgpr_read_b32 v86, a110
	v_pk_fma_f32 v[76:77], v[84:85], v[34:35], v[10:11] op_sel:[0,0,1] op_sel_hi:[1,1,0]
	v_pk_fma_f32 v[10:11], v[84:85], v[34:35], v[10:11] op_sel:[0,0,1] op_sel_hi:[0,1,0] neg_lo:[0,0,1] neg_hi:[0,0,1]
	v_accvgpr_read_b32 v10, a112
	v_accvgpr_read_b32 v87, a111
	v_mov_b32_e32 v77, v11
	s_waitcnt lgkmcnt(2)
	v_pk_mul_f32 v[10:11], v[10:11], v[40:41] op_sel_hi:[0,1]
	v_pk_fma_f32 v[78:79], v[86:87], v[40:41], v[10:11] op_sel:[0,0,1] op_sel_hi:[1,1,0]
	v_pk_fma_f32 v[10:11], v[86:87], v[40:41], v[10:11] op_sel:[0,0,1] op_sel_hi:[0,1,0] neg_lo:[0,0,1] neg_hi:[0,0,1]
	v_accvgpr_read_b32 v84, a114
	v_accvgpr_read_b32 v85, a115
	;; [unrolled: 1-line block ×3, first 2 shown]
	v_mov_b32_e32 v79, v11
	s_waitcnt lgkmcnt(1)
	v_pk_mul_f32 v[10:11], v[84:85], v[134:135] op_sel:[1,0]
	v_accvgpr_read_b32 v173, a121
	v_accvgpr_read_b32 v172, a120
	v_pk_fma_f32 v[124:125], v[84:85], v[134:135], v[10:11] op_sel:[0,0,1] op_sel_hi:[1,1,0]
	v_pk_fma_f32 v[10:11], v[84:85], v[134:135], v[10:11] op_sel:[0,0,1] op_sel_hi:[0,1,0] neg_lo:[0,0,1] neg_hi:[0,0,1]
	v_pk_mul_f32 v[134:135], v[172:173], v[32:33] op_sel:[1,0]
	v_accvgpr_read_b32 v16, a128
	v_pk_fma_f32 v[168:169], v[172:173], v[32:33], v[134:135] op_sel:[0,0,1] op_sel_hi:[1,1,0]
	v_pk_fma_f32 v[32:33], v[172:173], v[32:33], v[134:135] op_sel:[0,0,1] op_sel_hi:[0,1,0] neg_lo:[0,0,1] neg_hi:[0,0,1]
	v_mov_b32_e32 v169, v33
	v_pk_mul_f32 v[32:33], v[16:17], v[38:39] op_sel_hi:[0,1]
	v_pk_fma_f32 v[134:135], v[174:175], v[38:39], v[32:33] op_sel:[0,0,1] op_sel_hi:[1,1,0]
	v_pk_fma_f32 v[32:33], v[174:175], v[38:39], v[32:33] op_sel:[0,0,1] op_sel_hi:[0,1,0] neg_lo:[0,0,1] neg_hi:[0,0,1]
	v_accvgpr_read_b32 v174, a126
	v_accvgpr_read_b32 v173, a125
	;; [unrolled: 1-line block ×3, first 2 shown]
	v_mov_b32_e32 v135, v33
	v_pk_mul_f32 v[32:33], v[172:173], v[132:133] op_sel:[1,0]
	v_accvgpr_read_b32 v16, a130
	v_pk_fma_f32 v[38:39], v[172:173], v[132:133], v[32:33] op_sel:[0,0,1] op_sel_hi:[1,1,0]
	v_pk_fma_f32 v[32:33], v[172:173], v[132:133], v[32:33] op_sel:[0,0,1] op_sel_hi:[0,1,0] neg_lo:[0,0,1] neg_hi:[0,0,1]
	v_mov_b32_e32 v39, v33
	s_waitcnt lgkmcnt(0)
	v_pk_mul_f32 v[32:33], v[16:17], v[20:21] op_sel_hi:[0,1]
	v_pk_fma_f32 v[132:133], v[174:175], v[20:21], v[32:33] op_sel:[0,0,1] op_sel_hi:[1,1,0]
	v_pk_fma_f32 v[20:21], v[174:175], v[20:21], v[32:33] op_sel:[0,0,1] op_sel_hi:[0,1,0] neg_lo:[0,0,1] neg_hi:[0,0,1]
	v_mov_b32_e32 v133, v21
	v_pk_add_f32 v[32:33], v[134:135], v[38:39]
	v_pk_add_f32 v[174:175], v[168:169], v[132:133] neg_lo:[0,1] neg_hi:[0,1]
	v_pk_fma_f32 v[32:33], v[32:33], 0.5, v[4:5] op_sel_hi:[1,0,1] neg_lo:[1,0,0] neg_hi:[1,0,0]
	v_pk_mul_f32 v[172:173], v[174:175], s[4:5] op_sel_hi:[1,0]
	v_pk_add_f32 v[178:179], v[134:135], v[38:39] neg_lo:[0,1] neg_hi:[0,1]
	v_pk_add_f32 v[142:143], v[168:169], v[134:135] neg_lo:[0,1] neg_hi:[0,1]
	;; [unrolled: 1-line block ×3, first 2 shown]
	v_pk_add_f32 v[20:21], v[4:5], v[168:169]
	v_pk_mul_f32 v[176:177], v[178:179], s[8:9] op_sel_hi:[1,0]
	v_pk_add_f32 v[142:143], v[142:143], v[198:199]
	v_pk_add_f32 v[198:199], v[32:33], v[172:173] op_sel:[0,1] op_sel_hi:[1,0] neg_lo:[0,1] neg_hi:[0,1]
	v_pk_add_f32 v[32:33], v[32:33], v[172:173] op_sel:[0,1] op_sel_hi:[1,0]
	v_pk_add_f32 v[20:21], v[20:21], v[134:135]
	v_pk_add_f32 v[32:33], v[32:33], v[176:177] op_sel:[0,1] op_sel_hi:[1,0]
	v_pk_add_f32 v[172:173], v[198:199], v[176:177] op_sel:[0,1] op_sel_hi:[1,0] neg_lo:[0,1] neg_hi:[0,1]
	v_pk_add_f32 v[20:21], v[20:21], v[38:39]
	v_mov_b32_e32 v176, v172
	v_mov_b32_e32 v177, v33
	v_pk_add_f32 v[20:21], v[20:21], v[132:133]
	v_pk_fma_f32 v[176:177], v[142:143], s[2:3], v[176:177] op_sel_hi:[1,0,1]
	v_accvgpr_read_b32 v16, a71
	s_barrier
	ds_write2_b64 v16, v[20:21], v[176:177] offset1:10
	v_pk_add_f32 v[20:21], v[168:169], v[132:133]
	v_pk_add_f32 v[38:39], v[38:39], v[132:133] neg_lo:[0,1] neg_hi:[0,1]
	v_pk_fma_f32 v[4:5], v[20:21], 0.5, v[4:5] op_sel_hi:[1,0,1] neg_lo:[1,0,0] neg_hi:[1,0,0]
	v_pk_add_f32 v[20:21], v[134:135], v[168:169] neg_lo:[0,1] neg_hi:[0,1]
	v_accvgpr_read_b32 v10, a118
	v_pk_add_f32 v[20:21], v[20:21], v[38:39]
	v_pk_mul_f32 v[38:39], v[178:179], s[4:5] op_sel_hi:[1,0]
	v_pk_mul_f32 v[132:133], v[174:175], s[8:9] op_sel_hi:[1,0]
	v_pk_add_f32 v[134:135], v[4:5], v[38:39] op_sel:[0,1] op_sel_hi:[1,0]
	v_pk_add_f32 v[4:5], v[4:5], v[38:39] op_sel:[0,1] op_sel_hi:[1,0] neg_lo:[0,1] neg_hi:[0,1]
	v_accvgpr_read_b32 v86, a116
	v_accvgpr_read_b32 v87, a117
	v_mov_b32_e32 v125, v11
	v_pk_mul_f32 v[10:11], v[10:11], v[22:23] op_sel_hi:[0,1]
	v_pk_add_f32 v[4:5], v[4:5], v[132:133] op_sel:[0,1] op_sel_hi:[1,0]
	v_pk_add_f32 v[38:39], v[134:135], v[132:133] op_sel:[0,1] op_sel_hi:[1,0] neg_lo:[0,1] neg_hi:[0,1]
	v_pk_fma_f32 v[40:41], v[86:87], v[22:23], v[10:11] op_sel:[0,0,1] op_sel_hi:[1,1,0]
	v_pk_fma_f32 v[10:11], v[86:87], v[22:23], v[10:11] op_sel:[0,0,1] op_sel_hi:[0,1,0] neg_lo:[0,0,1] neg_hi:[0,0,1]
	v_mov_b32_e32 v132, v38
	v_mov_b32_e32 v133, v5
	;; [unrolled: 1-line block ×4, first 2 shown]
	v_pk_add_f32 v[10:11], v[78:79], v[124:125]
	v_pk_fma_f32 v[132:133], v[20:21], s[2:3], v[132:133] op_sel_hi:[1,0,1]
	v_pk_fma_f32 v[4:5], v[20:21], s[2:3], v[4:5] op_sel_hi:[1,0,1]
	v_mov_b32_e32 v33, v173
	v_pk_fma_f32 v[22:23], v[10:11], 0.5, v[6:7] op_sel_hi:[1,0,1] neg_lo:[1,0,0] neg_hi:[1,0,0]
	v_pk_add_f32 v[10:11], v[76:77], v[40:41] neg_lo:[0,1] neg_hi:[0,1]
	v_pk_add_f32 v[34:35], v[76:77], v[78:79] neg_lo:[0,1] neg_hi:[0,1]
	;; [unrolled: 1-line block ×3, first 2 shown]
	ds_write2_b64 v16, v[132:133], v[4:5] offset0:20 offset1:30
	v_pk_fma_f32 v[4:5], v[142:143], s[2:3], v[32:33] op_sel_hi:[1,0,1]
	v_pk_add_f32 v[126:127], v[78:79], v[124:125] neg_lo:[0,1] neg_hi:[0,1]
	v_pk_add_f32 v[84:85], v[34:35], v[84:85]
	v_pk_fma_f32 v[34:35], v[10:11], s[4:5], v[22:23] op_sel:[1,0,0] op_sel_hi:[0,0,1]
	v_pk_fma_f32 v[22:23], v[10:11], s[4:5], v[22:23] op_sel:[1,0,0] op_sel_hi:[0,0,1] neg_lo:[1,0,0] neg_hi:[1,0,0]
	ds_write_b64 v16, v[4:5] offset:320
	v_pk_add_f32 v[4:5], v[6:7], v[76:77]
	v_pk_fma_f32 v[86:87], v[126:127], s[8:9], v[22:23] op_sel:[1,0,0] op_sel_hi:[0,0,1] neg_lo:[1,0,0] neg_hi:[1,0,0]
	v_pk_fma_f32 v[34:35], v[126:127], s[8:9], v[34:35] op_sel:[1,0,0] op_sel_hi:[0,0,1]
	v_pk_add_f32 v[4:5], v[4:5], v[78:79]
	v_mov_b32_e32 v23, v87
	v_pk_add_f32 v[4:5], v[4:5], v[124:125]
	v_mov_b32_e32 v87, v35
	v_pk_add_f32 v[4:5], v[4:5], v[40:41]
	v_pk_fma_f32 v[20:21], v[84:85], s[2:3], v[86:87] op_sel_hi:[1,0,1]
	v_accvgpr_read_b32 v16, a73
	ds_write2_b64 v16, v[4:5], v[20:21] offset1:10
	v_pk_add_f32 v[4:5], v[76:77], v[40:41]
	v_pk_add_f32 v[20:21], v[124:125], v[40:41] neg_lo:[0,1] neg_hi:[0,1]
	v_pk_fma_f32 v[4:5], v[4:5], 0.5, v[6:7] op_sel_hi:[1,0,1] neg_lo:[1,0,0] neg_hi:[1,0,0]
	v_pk_add_f32 v[6:7], v[78:79], v[76:77] neg_lo:[0,1] neg_hi:[0,1]
	v_mov_b32_e32 v22, v34
	v_pk_add_f32 v[6:7], v[6:7], v[20:21]
	v_pk_fma_f32 v[20:21], v[126:127], s[4:5], v[4:5] op_sel:[1,0,0] op_sel_hi:[0,0,1] neg_lo:[1,0,0] neg_hi:[1,0,0]
	v_pk_fma_f32 v[4:5], v[126:127], s[4:5], v[4:5] op_sel:[1,0,0] op_sel_hi:[0,0,1]
	v_pk_fma_f32 v[4:5], v[10:11], s[8:9], v[4:5] op_sel:[1,0,0] op_sel_hi:[0,0,1] neg_lo:[1,0,0] neg_hi:[1,0,0]
	v_pk_fma_f32 v[10:11], v[10:11], s[8:9], v[20:21] op_sel:[1,0,0] op_sel_hi:[0,0,1]
	v_mov_b32_e32 v20, v10
	v_mov_b32_e32 v21, v5
	;; [unrolled: 1-line block ×3, first 2 shown]
	v_pk_fma_f32 v[20:21], v[6:7], s[2:3], v[20:21] op_sel_hi:[1,0,1]
	v_pk_fma_f32 v[4:5], v[6:7], s[2:3], v[4:5] op_sel_hi:[1,0,1]
	;; [unrolled: 1-line block ×3, first 2 shown]
	ds_write2_b64 v16, v[4:5], v[20:21] offset0:20 offset1:30
	ds_write_b64 v16, v[22:23] offset:320
	v_pk_add_f32 v[4:5], v[0:1], v[238:239]
	v_mov_b32_e32 v255, v17
	v_pk_add_f32 v[4:5], v[4:5], v[240:241]
	v_pk_fma_f32 v[6:7], v[252:253], s[2:3], v[254:255] op_sel_hi:[1,0,1]
	v_pk_add_f32 v[4:5], v[4:5], v[244:245]
	v_accvgpr_read_b32 v16, a83
	v_pk_add_f32 v[4:5], v[4:5], v[250:251]
	ds_write2_b64 v16, v[4:5], v[6:7] offset1:10
	v_pk_add_f32 v[4:5], v[238:239], v[250:251]
	v_pk_add_f32 v[6:7], v[244:245], v[250:251] neg_lo:[0,1] neg_hi:[0,1]
	v_pk_fma_f32 v[0:1], v[4:5], 0.5, v[0:1] op_sel_hi:[1,0,1] neg_lo:[1,0,0] neg_hi:[1,0,0]
	v_pk_add_f32 v[4:5], v[240:241], v[238:239] neg_lo:[0,1] neg_hi:[0,1]
	v_mov_b32_e32 v235, v237
	v_pk_add_f32 v[4:5], v[4:5], v[6:7]
	v_pk_fma_f32 v[6:7], v[248:249], s[4:5], v[0:1] op_sel:[1,0,0] op_sel_hi:[0,0,1] neg_lo:[1,0,0] neg_hi:[1,0,0]
	v_pk_fma_f32 v[0:1], v[248:249], s[4:5], v[0:1] op_sel:[1,0,0] op_sel_hi:[0,0,1]
	v_pk_fma_f32 v[0:1], v[246:247], s[8:9], v[0:1] op_sel:[1,0,0] op_sel_hi:[0,0,1] neg_lo:[1,0,0] neg_hi:[1,0,0]
	v_pk_fma_f32 v[6:7], v[246:247], s[8:9], v[6:7] op_sel:[1,0,0] op_sel_hi:[0,0,1]
	v_mov_b32_e32 v10, v6
	v_mov_b32_e32 v11, v1
	;; [unrolled: 1-line block ×3, first 2 shown]
	v_pk_fma_f32 v[10:11], v[4:5], s[2:3], v[10:11] op_sel_hi:[1,0,1]
	v_pk_fma_f32 v[0:1], v[4:5], s[2:3], v[0:1] op_sel_hi:[1,0,1]
	v_accvgpr_read_b32 v4, a83
	ds_write2_b64 v4, v[0:1], v[10:11] offset0:20 offset1:30
	ds_write_b64 v4, v[242:243] offset:320
	v_pk_add_f32 v[0:1], v[2:3], v[218:219]
	v_pk_fma_f32 v[4:5], v[232:233], s[2:3], v[234:235] op_sel_hi:[1,0,1]
	v_pk_add_f32 v[0:1], v[0:1], v[222:223]
	v_accvgpr_read_b32 v10, a85
	v_pk_add_f32 v[0:1], v[0:1], v[224:225]
	v_mov_b32_e32 v215, v217
	v_pk_add_f32 v[0:1], v[0:1], v[228:229]
	ds_write2_b64 v10, v[0:1], v[4:5] offset1:10
	v_pk_add_f32 v[0:1], v[218:219], v[228:229]
	v_pk_add_f32 v[4:5], v[224:225], v[228:229] neg_lo:[0,1] neg_hi:[0,1]
	v_pk_fma_f32 v[0:1], v[0:1], 0.5, v[2:3] op_sel_hi:[1,0,1] neg_lo:[1,0,0] neg_hi:[1,0,0]
	v_pk_add_f32 v[2:3], v[222:223], v[218:219] neg_lo:[0,1] neg_hi:[0,1]
	v_accvgpr_read_b32 v10, a79
	v_pk_add_f32 v[2:3], v[2:3], v[4:5]
	v_pk_fma_f32 v[4:5], v[230:231], s[4:5], v[0:1] op_sel:[1,0,0] op_sel_hi:[0,0,1] neg_lo:[1,0,0] neg_hi:[1,0,0]
	v_pk_fma_f32 v[0:1], v[230:231], s[4:5], v[0:1] op_sel:[1,0,0] op_sel_hi:[0,0,1]
	v_pk_fma_f32 v[0:1], v[226:227], s[8:9], v[0:1] op_sel:[1,0,0] op_sel_hi:[0,0,1] neg_lo:[1,0,0] neg_hi:[1,0,0]
	v_pk_fma_f32 v[4:5], v[226:227], s[8:9], v[4:5] op_sel:[1,0,0] op_sel_hi:[0,0,1]
	v_mov_b32_e32 v6, v4
	v_mov_b32_e32 v7, v1
	v_mov_b32_e32 v1, v5
	v_pk_fma_f32 v[6:7], v[2:3], s[2:3], v[6:7] op_sel_hi:[1,0,1]
	v_pk_fma_f32 v[0:1], v[2:3], s[2:3], v[0:1] op_sel_hi:[1,0,1]
	v_accvgpr_read_b32 v2, a85
	ds_write2_b64 v2, v[0:1], v[6:7] offset0:20 offset1:30
	ds_write_b64 v2, v[220:221] offset:320
	v_pk_add_f32 v[0:1], v[208:209], v[28:29]
	v_pk_fma_f32 v[2:3], v[212:213], s[2:3], v[214:215] op_sel_hi:[1,0,1]
	v_pk_add_f32 v[0:1], v[0:1], v[30:31]
	v_pk_add_f32 v[4:5], v[48:49], v[58:59] neg_lo:[0,1] neg_hi:[0,1]
	v_pk_add_f32 v[0:1], v[0:1], v[48:49]
	v_mov_b32_e32 v25, v141
	v_pk_add_f32 v[0:1], v[0:1], v[58:59]
	ds_write2_b64 v10, v[0:1], v[2:3] offset1:10
	v_pk_add_f32 v[0:1], v[28:29], v[58:59]
	v_pk_add_f32 v[2:3], v[30:31], v[28:29] neg_lo:[0,1] neg_hi:[0,1]
	v_pk_fma_f32 v[0:1], v[0:1], 0.5, v[208:209] op_sel_hi:[1,0,1] neg_lo:[1,0,0] neg_hi:[1,0,0]
	v_pk_add_f32 v[2:3], v[2:3], v[4:5]
	v_pk_fma_f32 v[4:5], v[56:57], s[4:5], v[0:1] op_sel:[1,0,0] op_sel_hi:[0,0,1] neg_lo:[1,0,0] neg_hi:[1,0,0]
	v_pk_fma_f32 v[0:1], v[56:57], s[4:5], v[0:1] op_sel:[1,0,0] op_sel_hi:[0,0,1]
	v_pk_fma_f32 v[0:1], v[50:51], s[8:9], v[0:1] op_sel:[1,0,0] op_sel_hi:[0,0,1] neg_lo:[1,0,0] neg_hi:[1,0,0]
	v_pk_fma_f32 v[4:5], v[50:51], s[8:9], v[4:5] op_sel:[1,0,0] op_sel_hi:[0,0,1]
	v_mov_b32_e32 v6, v4
	v_mov_b32_e32 v7, v1
	;; [unrolled: 1-line block ×3, first 2 shown]
	v_pk_fma_f32 v[6:7], v[2:3], s[2:3], v[6:7] op_sel_hi:[1,0,1]
	v_pk_fma_f32 v[0:1], v[2:3], s[2:3], v[0:1] op_sel_hi:[1,0,1]
	v_accvgpr_read_b32 v2, a79
	ds_write2_b64 v2, v[0:1], v[6:7] offset0:20 offset1:30
	ds_write_b64 v2, v[42:43] offset:320
	v_pk_add_f32 v[0:1], v[210:211], v[8:9]
	v_pk_fma_f32 v[2:3], v[36:37], s[2:3], v[24:25] op_sel_hi:[1,0,1]
	v_pk_add_f32 v[0:1], v[0:1], v[12:13]
	v_accvgpr_read_b32 v10, a77
	v_pk_add_f32 v[0:1], v[0:1], v[14:15]
	v_pk_add_f32 v[4:5], v[14:15], v[18:19] neg_lo:[0,1] neg_hi:[0,1]
	v_pk_add_f32 v[0:1], v[0:1], v[18:19]
	ds_write2_b64 v10, v[0:1], v[2:3] offset1:10
	v_pk_add_f32 v[0:1], v[8:9], v[18:19]
	v_pk_add_f32 v[2:3], v[12:13], v[8:9] neg_lo:[0,1] neg_hi:[0,1]
	v_pk_fma_f32 v[0:1], v[0:1], 0.5, v[210:211] op_sel_hi:[1,0,1] neg_lo:[1,0,0] neg_hi:[1,0,0]
	v_pk_add_f32 v[2:3], v[2:3], v[4:5]
	v_pk_fma_f32 v[4:5], v[170:171], s[4:5], v[0:1] op_sel:[1,0,0] op_sel_hi:[0,0,1] neg_lo:[1,0,0] neg_hi:[1,0,0]
	v_pk_fma_f32 v[0:1], v[170:171], s[4:5], v[0:1] op_sel:[1,0,0] op_sel_hi:[0,0,1]
	v_pk_fma_f32 v[0:1], v[26:27], s[8:9], v[0:1] op_sel:[1,0,0] op_sel_hi:[0,0,1] neg_lo:[1,0,0] neg_hi:[1,0,0]
	v_pk_fma_f32 v[4:5], v[26:27], s[8:9], v[4:5] op_sel:[1,0,0] op_sel_hi:[0,0,1]
	v_mov_b32_e32 v6, v4
	v_mov_b32_e32 v7, v1
	;; [unrolled: 1-line block ×3, first 2 shown]
	v_pk_fma_f32 v[6:7], v[2:3], s[2:3], v[6:7] op_sel_hi:[1,0,1]
	v_pk_fma_f32 v[0:1], v[2:3], s[2:3], v[0:1] op_sel_hi:[1,0,1]
	v_accvgpr_read_b32 v2, a77
	ds_write2_b64 v2, v[0:1], v[6:7] offset0:20 offset1:30
	ds_write_b64 v2, v[82:83] offset:320
	s_waitcnt lgkmcnt(0)
	s_barrier
	ds_read2_b64 v[0:3], v183 offset0:56 offset1:191
	ds_read2_b64 v[4:7], v155 offset0:62 offset1:197
	;; [unrolled: 1-line block ×3, first 2 shown]
	v_mov_b32_e32 v47, v71
	v_accvgpr_read_b32 v124, a148
	v_accvgpr_read_b32 v125, a149
	s_waitcnt lgkmcnt(1)
	v_pk_mul_f32 v[12:13], v[60:61], v[6:7] op_sel:[1,0]
	v_accvgpr_read_b32 v126, a150
	v_pk_fma_f32 v[20:21], v[60:61], v[6:7], v[12:13] op_sel:[0,0,1] op_sel_hi:[1,1,0]
	v_pk_fma_f32 v[6:7], v[60:61], v[6:7], v[12:13] op_sel:[0,0,1] op_sel_hi:[0,1,0] neg_lo:[0,0,1] neg_hi:[0,0,1]
	v_accvgpr_read_b32 v6, a132
	v_mov_b32_e32 v21, v7
	s_waitcnt lgkmcnt(0)
	v_pk_mul_f32 v[6:7], v[6:7], v[10:11] op_sel_hi:[0,1]
	v_pk_fma_f32 v[16:17], v[62:63], v[10:11], v[6:7] op_sel:[0,0,1] op_sel_hi:[1,1,0]
	v_pk_fma_f32 v[6:7], v[62:63], v[10:11], v[6:7] op_sel:[0,0,1] op_sel_hi:[0,1,0] neg_lo:[0,0,1] neg_hi:[0,0,1]
	v_mov_b32_e32 v17, v7
	v_pk_add_f32 v[6:7], v[20:21], v[16:17]
	v_pk_add_f32 v[10:11], v[20:21], v[16:17] neg_lo:[0,1] neg_hi:[0,1]
	v_pk_fma_f32 v[6:7], v[6:7], 0.5, v[2:3] op_sel_hi:[1,0,1] neg_lo:[1,0,0] neg_hi:[1,0,0]
	v_pk_mul_f32 v[10:11], v[10:11], s[10:11] op_sel_hi:[1,0]
	v_accvgpr_read_b32 v60, a142
	v_pk_add_f32 v[18:19], v[6:7], v[10:11] op_sel:[0,1] op_sel_hi:[1,0]
	v_pk_add_f32 v[22:23], v[6:7], v[10:11] op_sel:[0,1] op_sel_hi:[1,0] neg_lo:[0,1] neg_hi:[0,1]
	v_pk_mul_f32 v[6:7], v[52:53], v[4:5] op_sel:[1,0]
	v_accvgpr_read_b32 v61, a143
	v_pk_fma_f32 v[24:25], v[52:53], v[4:5], v[6:7] op_sel:[0,0,1] op_sel_hi:[1,1,0]
	v_pk_fma_f32 v[4:5], v[52:53], v[4:5], v[6:7] op_sel:[0,0,1] op_sel_hi:[0,1,0] neg_lo:[0,0,1] neg_hi:[0,0,1]
	v_accvgpr_read_b32 v4, a134
	v_mov_b32_e32 v25, v5
	v_pk_mul_f32 v[4:5], v[4:5], v[8:9] op_sel_hi:[0,1]
	v_pk_fma_f32 v[26:27], v[54:55], v[8:9], v[4:5] op_sel:[0,0,1] op_sel_hi:[1,1,0]
	v_pk_fma_f32 v[4:5], v[54:55], v[8:9], v[4:5] op_sel:[0,0,1] op_sel_hi:[0,1,0] neg_lo:[0,0,1] neg_hi:[0,0,1]
	v_mov_b32_e32 v27, v5
	v_pk_add_f32 v[4:5], v[24:25], v[26:27]
	v_pk_add_f32 v[6:7], v[24:25], v[26:27] neg_lo:[0,1] neg_hi:[0,1]
	v_pk_fma_f32 v[4:5], v[4:5], 0.5, v[0:1] op_sel_hi:[1,0,1] neg_lo:[1,0,0] neg_hi:[1,0,0]
	v_pk_mul_f32 v[6:7], v[6:7], s[10:11] op_sel_hi:[1,0]
	v_accvgpr_read_b32 v62, a144
	v_pk_add_f32 v[28:29], v[4:5], v[6:7] op_sel:[0,1] op_sel_hi:[1,0]
	v_pk_add_f32 v[30:31], v[4:5], v[6:7] op_sel:[0,1] op_sel_hi:[1,0] neg_lo:[0,1] neg_hi:[0,1]
	ds_read2_b64 v[4:7], v187 offset0:42 offset1:177
	ds_read2_b64 v[8:11], v71 offset0:112 offset1:247
	;; [unrolled: 1-line block ×3, first 2 shown]
	v_accvgpr_read_b32 v172, a162
	v_accvgpr_read_b32 v171, a161
	;; [unrolled: 1-line block ×3, first 2 shown]
	s_waitcnt lgkmcnt(1)
	v_pk_mul_f32 v[32:33], v[64:65], v[10:11] op_sel:[1,0]
	v_accvgpr_read_b32 v176, a168
	v_pk_fma_f32 v[36:37], v[64:65], v[10:11], v[32:33] op_sel:[0,0,1] op_sel_hi:[1,1,0]
	v_pk_fma_f32 v[10:11], v[64:65], v[10:11], v[32:33] op_sel:[0,0,1] op_sel_hi:[0,1,0] neg_lo:[0,0,1] neg_hi:[0,0,1]
	v_accvgpr_read_b32 v10, a136
	v_mov_b32_e32 v37, v11
	s_waitcnt lgkmcnt(0)
	v_pk_mul_f32 v[10:11], v[10:11], v[14:15] op_sel_hi:[0,1]
	v_pk_fma_f32 v[32:33], v[66:67], v[14:15], v[10:11] op_sel:[0,0,1] op_sel_hi:[1,1,0]
	v_pk_fma_f32 v[10:11], v[66:67], v[14:15], v[10:11] op_sel:[0,0,1] op_sel_hi:[0,1,0] neg_lo:[0,0,1] neg_hi:[0,0,1]
	v_mov_b32_e32 v33, v11
	v_pk_add_f32 v[10:11], v[36:37], v[32:33]
	v_pk_add_f32 v[14:15], v[36:37], v[32:33] neg_lo:[0,1] neg_hi:[0,1]
	v_pk_fma_f32 v[10:11], v[10:11], 0.5, v[6:7] op_sel_hi:[1,0,1] neg_lo:[1,0,0] neg_hi:[1,0,0]
	v_pk_mul_f32 v[14:15], v[14:15], s[10:11] op_sel_hi:[1,0]
	v_accvgpr_read_b32 v175, a167
	v_pk_add_f32 v[34:35], v[10:11], v[14:15] op_sel:[0,1] op_sel_hi:[1,0]
	v_pk_add_f32 v[38:39], v[10:11], v[14:15] op_sel:[0,1] op_sel_hi:[1,0] neg_lo:[0,1] neg_hi:[0,1]
	v_pk_mul_f32 v[10:11], v[72:73], v[8:9] op_sel:[1,0]
	v_accvgpr_read_b32 v174, a166
	v_pk_fma_f32 v[40:41], v[72:73], v[8:9], v[10:11] op_sel:[0,0,1] op_sel_hi:[1,1,0]
	v_pk_fma_f32 v[8:9], v[72:73], v[8:9], v[10:11] op_sel:[0,0,1] op_sel_hi:[0,1,0] neg_lo:[0,0,1] neg_hi:[0,0,1]
	v_accvgpr_read_b32 v8, a138
	v_mov_b32_e32 v41, v9
	v_pk_mul_f32 v[8:9], v[8:9], v[12:13] op_sel_hi:[0,1]
	v_pk_fma_f32 v[42:43], v[74:75], v[12:13], v[8:9] op_sel:[0,0,1] op_sel_hi:[1,1,0]
	v_pk_fma_f32 v[8:9], v[74:75], v[12:13], v[8:9] op_sel:[0,0,1] op_sel_hi:[0,1,0] neg_lo:[0,0,1] neg_hi:[0,0,1]
	v_mov_b32_e32 v43, v9
	v_pk_add_f32 v[8:9], v[40:41], v[42:43]
	v_pk_add_f32 v[10:11], v[40:41], v[42:43] neg_lo:[0,1] neg_hi:[0,1]
	v_pk_fma_f32 v[8:9], v[8:9], 0.5, v[4:5] op_sel_hi:[1,0,1] neg_lo:[1,0,0] neg_hi:[1,0,0]
	v_pk_mul_f32 v[10:11], v[10:11], s[10:11] op_sel_hi:[1,0]
	v_pk_add_f32 v[4:5], v[4:5], v[40:41]
	v_pk_add_f32 v[48:49], v[8:9], v[10:11] op_sel:[0,1] op_sel_hi:[1,0]
	v_pk_add_f32 v[50:51], v[8:9], v[10:11] op_sel:[0,1] op_sel_hi:[1,0] neg_lo:[0,1] neg_hi:[0,1]
	ds_read2_b64 v[8:11], v139 offset0:28 offset1:163
	ds_read2_b64 v[12:15], v119 offset0:98 offset1:233
	;; [unrolled: 1-line block ×3, first 2 shown]
	v_pk_add_f32 v[4:5], v[4:5], v[42:43]
	v_pk_add_f32 v[0:1], v[0:1], v[24:25]
	s_mov_b32 s2, 0xc0898b71
	s_waitcnt lgkmcnt(1)
	v_pk_mul_f32 v[56:57], v[68:69], v[14:15] op_sel:[1,0]
	v_pk_add_f32 v[0:1], v[0:1], v[26:27]
	v_pk_fma_f32 v[72:73], v[68:69], v[14:15], v[56:57] op_sel:[0,0,1] op_sel_hi:[1,1,0]
	v_pk_fma_f32 v[14:15], v[68:69], v[14:15], v[56:57] op_sel:[0,0,1] op_sel_hi:[0,1,0] neg_lo:[0,0,1] neg_hi:[0,0,1]
	v_accvgpr_read_b32 v14, a140
	v_mov_b32_e32 v73, v15
	s_waitcnt lgkmcnt(0)
	v_pk_mul_f32 v[14:15], v[14:15], v[54:55] op_sel_hi:[0,1]
	v_pk_fma_f32 v[56:57], v[70:71], v[54:55], v[14:15] op_sel:[0,0,1] op_sel_hi:[1,1,0]
	v_pk_fma_f32 v[14:15], v[70:71], v[54:55], v[14:15] op_sel:[0,0,1] op_sel_hi:[0,1,0] neg_lo:[0,0,1] neg_hi:[0,0,1]
	v_mov_b32_e32 v57, v15
	v_pk_add_f32 v[14:15], v[72:73], v[56:57]
	v_pk_add_f32 v[54:55], v[72:73], v[56:57] neg_lo:[0,1] neg_hi:[0,1]
	v_pk_fma_f32 v[14:15], v[14:15], 0.5, v[10:11] op_sel_hi:[1,0,1] neg_lo:[1,0,0] neg_hi:[1,0,0]
	v_pk_mul_f32 v[54:55], v[54:55], s[10:11] op_sel_hi:[1,0]
	s_mov_b32 s3, 0x3f302e85
	v_pk_add_f32 v[58:59], v[14:15], v[54:55] op_sel:[0,1] op_sel_hi:[1,0]
	v_pk_add_f32 v[68:69], v[14:15], v[54:55] op_sel:[0,1] op_sel_hi:[1,0] neg_lo:[0,1] neg_hi:[0,1]
	v_pk_mul_f32 v[14:15], v[60:61], v[12:13] op_sel:[1,0]
	s_nop 0
	v_pk_fma_f32 v[70:71], v[60:61], v[12:13], v[14:15] op_sel:[0,0,1] op_sel_hi:[1,1,0]
	v_pk_fma_f32 v[12:13], v[60:61], v[12:13], v[14:15] op_sel:[0,0,1] op_sel_hi:[0,1,0] neg_lo:[0,0,1] neg_hi:[0,0,1]
	v_accvgpr_read_b32 v12, a146
	v_mov_b32_e32 v71, v13
	v_pk_mul_f32 v[12:13], v[12:13], v[52:53] op_sel_hi:[0,1]
	v_pk_fma_f32 v[64:65], v[62:63], v[52:53], v[12:13] op_sel:[0,0,1] op_sel_hi:[1,1,0]
	v_pk_fma_f32 v[12:13], v[62:63], v[52:53], v[12:13] op_sel:[0,0,1] op_sel_hi:[0,1,0] neg_lo:[0,0,1] neg_hi:[0,0,1]
	v_mov_b32_e32 v65, v13
	v_pk_add_f32 v[12:13], v[70:71], v[64:65]
	v_pk_add_f32 v[14:15], v[70:71], v[64:65] neg_lo:[0,1] neg_hi:[0,1]
	v_pk_fma_f32 v[12:13], v[12:13], 0.5, v[8:9] op_sel_hi:[1,0,1] neg_lo:[1,0,0] neg_hi:[1,0,0]
	v_pk_mul_f32 v[14:15], v[14:15], s[10:11] op_sel_hi:[1,0]
	v_pk_add_f32 v[8:9], v[8:9], v[70:71]
	v_pk_add_f32 v[52:53], v[12:13], v[14:15] op_sel:[0,1] op_sel_hi:[1,0]
	v_pk_add_f32 v[54:55], v[12:13], v[14:15] op_sel:[0,1] op_sel_hi:[1,0] neg_lo:[0,1] neg_hi:[0,1]
	ds_read2_b64 v[12:15], v197 offset0:14 offset1:149
	ds_read2_b64 v[76:79], v207 offset0:84 offset1:219
	;; [unrolled: 1-line block ×3, first 2 shown]
	v_pk_add_f32 v[8:9], v[8:9], v[64:65]
	s_waitcnt lgkmcnt(1)
	v_pk_mul_f32 v[60:61], v[124:125], v[78:79] op_sel:[1,0]
	s_nop 0
	v_pk_fma_f32 v[66:67], v[124:125], v[78:79], v[60:61] op_sel:[0,0,1] op_sel_hi:[1,1,0]
	v_pk_fma_f32 v[60:61], v[124:125], v[78:79], v[60:61] op_sel:[0,0,1] op_sel_hi:[0,1,0] neg_lo:[0,0,1] neg_hi:[0,0,1]
	v_accvgpr_read_b32 v60, a152
	s_waitcnt lgkmcnt(0)
	v_pk_mul_f32 v[62:63], v[60:61], v[84:85] op_sel_hi:[0,1]
	v_mov_b32_e32 v67, v61
	v_pk_fma_f32 v[60:61], v[126:127], v[84:85], v[62:63] op_sel:[0,0,1] op_sel_hi:[1,1,0]
	v_pk_fma_f32 v[62:63], v[126:127], v[84:85], v[62:63] op_sel:[0,0,1] op_sel_hi:[0,1,0] neg_lo:[0,0,1] neg_hi:[0,0,1]
	v_mov_b32_e32 v61, v63
	v_pk_add_f32 v[62:63], v[66:67], v[60:61]
	v_accvgpr_read_b32 v124, a154
	v_pk_fma_f32 v[74:75], v[62:63], 0.5, v[14:15] op_sel_hi:[1,0,1] neg_lo:[1,0,0] neg_hi:[1,0,0]
	v_pk_add_f32 v[62:63], v[66:67], v[60:61] neg_lo:[0,1] neg_hi:[0,1]
	v_accvgpr_read_b32 v125, a155
	v_pk_mul_f32 v[78:79], v[62:63], s[10:11] op_sel_hi:[1,0]
	v_accvgpr_read_b32 v126, a156
	v_pk_add_f32 v[62:63], v[74:75], v[78:79] op_sel:[0,1] op_sel_hi:[1,0]
	v_pk_add_f32 v[74:75], v[74:75], v[78:79] op_sel:[0,1] op_sel_hi:[1,0] neg_lo:[0,1] neg_hi:[0,1]
	v_pk_mul_f32 v[78:79], v[124:125], v[76:77] op_sel:[1,0]
	s_nop 0
	v_pk_fma_f32 v[86:87], v[124:125], v[76:77], v[78:79] op_sel:[0,0,1] op_sel_hi:[1,1,0]
	v_pk_fma_f32 v[76:77], v[124:125], v[76:77], v[78:79] op_sel:[0,0,1] op_sel_hi:[0,1,0] neg_lo:[0,0,1] neg_hi:[0,0,1]
	v_accvgpr_read_b32 v76, a158
	v_mov_b32_e32 v87, v77
	v_pk_mul_f32 v[76:77], v[76:77], v[82:83] op_sel_hi:[0,1]
	v_pk_fma_f32 v[132:133], v[126:127], v[82:83], v[76:77] op_sel:[0,0,1] op_sel_hi:[1,1,0]
	v_pk_fma_f32 v[76:77], v[126:127], v[82:83], v[76:77] op_sel:[0,0,1] op_sel_hi:[0,1,0] neg_lo:[0,0,1] neg_hi:[0,0,1]
	v_mov_b32_e32 v133, v77
	v_pk_add_f32 v[76:77], v[86:87], v[132:133]
	v_pk_add_f32 v[78:79], v[86:87], v[132:133] neg_lo:[0,1] neg_hi:[0,1]
	v_pk_fma_f32 v[76:77], v[76:77], 0.5, v[12:13] op_sel_hi:[1,0,1] neg_lo:[1,0,0] neg_hi:[1,0,0]
	v_pk_mul_f32 v[78:79], v[78:79], s[10:11] op_sel_hi:[1,0]
	v_pk_add_f32 v[12:13], v[12:13], v[86:87]
	v_pk_add_f32 v[134:135], v[76:77], v[78:79] op_sel:[0,1] op_sel_hi:[1,0]
	v_pk_add_f32 v[140:141], v[76:77], v[78:79] op_sel:[0,1] op_sel_hi:[1,0] neg_lo:[0,1] neg_hi:[0,1]
	ds_read2_b64 v[76:79], v196 offset1:135
	ds_read2_b64 v[82:85], v99 offset0:70 offset1:205
	ds_read2_b64 v[124:127], v151 offset0:12 offset1:147
	s_waitcnt lgkmcnt(0)
	s_barrier
	v_pk_mul_f32 v[142:143], v[170:171], v[84:85] op_sel:[1,0]
	v_pk_add_f32 v[12:13], v[12:13], v[132:133]
	v_pk_fma_f32 v[168:169], v[170:171], v[84:85], v[142:143] op_sel:[0,0,1] op_sel_hi:[1,1,0]
	v_pk_fma_f32 v[84:85], v[170:171], v[84:85], v[142:143] op_sel:[0,0,1] op_sel_hi:[0,1,0] neg_lo:[0,0,1] neg_hi:[0,0,1]
	v_accvgpr_read_b32 v84, a164
	v_mov_b32_e32 v169, v85
	v_pk_mul_f32 v[84:85], v[84:85], v[126:127] op_sel_hi:[0,1]
	v_pk_fma_f32 v[142:143], v[172:173], v[126:127], v[84:85] op_sel:[0,0,1] op_sel_hi:[1,1,0]
	v_pk_fma_f32 v[84:85], v[172:173], v[126:127], v[84:85] op_sel:[0,0,1] op_sel_hi:[0,1,0] neg_lo:[0,0,1] neg_hi:[0,0,1]
	v_mov_b32_e32 v143, v85
	v_pk_add_f32 v[84:85], v[168:169], v[142:143]
	v_pk_add_f32 v[126:127], v[168:169], v[142:143] neg_lo:[0,1] neg_hi:[0,1]
	v_pk_fma_f32 v[84:85], v[84:85], 0.5, v[78:79] op_sel_hi:[1,0,1] neg_lo:[1,0,0] neg_hi:[1,0,0]
	v_pk_mul_f32 v[126:127], v[126:127], s[10:11] op_sel_hi:[1,0]
	s_nop 0
	v_pk_add_f32 v[170:171], v[84:85], v[126:127] op_sel:[0,1] op_sel_hi:[1,0]
	v_pk_add_f32 v[84:85], v[84:85], v[126:127] op_sel:[0,1] op_sel_hi:[1,0] neg_lo:[0,1] neg_hi:[0,1]
	v_pk_mul_f32 v[126:127], v[174:175], v[82:83] op_sel:[1,0]
	s_nop 0
	v_pk_fma_f32 v[172:173], v[174:175], v[82:83], v[126:127] op_sel:[0,0,1] op_sel_hi:[1,1,0]
	v_pk_fma_f32 v[82:83], v[174:175], v[82:83], v[126:127] op_sel:[0,0,1] op_sel_hi:[0,1,0] neg_lo:[0,0,1] neg_hi:[0,0,1]
	v_accvgpr_read_b32 v82, a170
	v_mov_b32_e32 v173, v83
	v_pk_mul_f32 v[82:83], v[82:83], v[124:125] op_sel_hi:[0,1]
	v_pk_fma_f32 v[126:127], v[176:177], v[124:125], v[82:83] op_sel:[0,0,1] op_sel_hi:[1,1,0]
	v_pk_fma_f32 v[82:83], v[176:177], v[124:125], v[82:83] op_sel:[0,0,1] op_sel_hi:[0,1,0] neg_lo:[0,0,1] neg_hi:[0,0,1]
	v_mov_b32_e32 v127, v83
	v_pk_add_f32 v[124:125], v[172:173], v[126:127]
	v_pk_add_f32 v[82:83], v[76:77], v[172:173]
	v_pk_fma_f32 v[76:77], v[124:125], 0.5, v[76:77] op_sel_hi:[1,0,1] neg_lo:[1,0,0] neg_hi:[1,0,0]
	v_pk_add_f32 v[124:125], v[172:173], v[126:127] neg_lo:[0,1] neg_hi:[0,1]
	v_pk_add_f32 v[82:83], v[82:83], v[126:127]
	v_pk_mul_f32 v[124:125], v[124:125], s[10:11] op_sel_hi:[1,0]
	s_nop 0
	v_pk_add_f32 v[126:127], v[76:77], v[124:125] op_sel:[0,1] op_sel_hi:[1,0] neg_lo:[0,1] neg_hi:[0,1]
	v_pk_add_f32 v[76:77], v[76:77], v[124:125] op_sel:[0,1] op_sel_hi:[1,0]
	v_mov_b32_e32 v124, v126
	v_mov_b32_e32 v125, v77
	v_accvgpr_read_b32 v126, a99
	v_mov_b32_e32 v77, v127
	ds_write_b64 v126, v[76:77] offset:800
	v_pk_add_f32 v[76:77], v[78:79], v[168:169]
	ds_write2_b64 v126, v[82:83], v[124:125] offset1:50
	v_pk_add_f32 v[76:77], v[76:77], v[142:143]
	v_mov_b32_e32 v78, v84
	v_mov_b32_e32 v79, v171
	v_accvgpr_read_b32 v82, a70
	ds_write2_b64 v82, v[76:77], v[78:79] offset1:50
	v_mov_b32_e32 v171, v85
	v_mov_b32_e32 v76, v140
	v_mov_b32_e32 v77, v135
	v_accvgpr_read_b32 v78, a103
	ds_write_b64 v82, v[170:171] offset:800
	ds_write2_b64 v78, v[12:13], v[76:77] offset1:50
	v_pk_add_f32 v[12:13], v[14:15], v[66:67]
	v_mov_b32_e32 v135, v141
	v_pk_add_f32 v[12:13], v[12:13], v[60:61]
	v_mov_b32_e32 v14, v74
	v_mov_b32_e32 v15, v63
	v_accvgpr_read_b32 v60, a69
	ds_write_b64 v78, v[134:135] offset:800
	ds_write2_b64 v60, v[12:13], v[14:15] offset1:50
	v_mov_b32_e32 v63, v75
	v_mov_b32_e32 v12, v54
	v_mov_b32_e32 v13, v53
	v_accvgpr_read_b32 v14, a105
	ds_write_b64 v60, v[62:63] offset:800
	ds_write2_b64 v14, v[8:9], v[12:13] offset1:50
	v_pk_add_f32 v[8:9], v[10:11], v[72:73]
	v_mov_b32_e32 v53, v55
	v_pk_add_f32 v[8:9], v[8:9], v[56:57]
	v_mov_b32_e32 v10, v68
	v_mov_b32_e32 v11, v59
	v_accvgpr_read_b32 v12, a68
	ds_write_b64 v14, v[52:53] offset:800
	;; [unrolled: 14-line block ×3, first 2 shown]
	ds_write2_b64 v8, v[4:5], v[6:7] offset1:50
	v_mov_b32_e32 v35, v39
	v_mov_b32_e32 v4, v30
	;; [unrolled: 1-line block ×3, first 2 shown]
	v_accvgpr_read_b32 v6, a113
	ds_write_b64 v8, v[34:35] offset:800
	ds_write2_b64 v6, v[0:1], v[4:5] offset1:50
	v_pk_add_f32 v[0:1], v[2:3], v[20:21]
	v_mov_b32_e32 v29, v31
	v_pk_add_f32 v[0:1], v[0:1], v[16:17]
	v_mov_b32_e32 v2, v22
	v_mov_b32_e32 v3, v19
	v_accvgpr_read_b32 v4, a119
	v_mov_b32_e32 v19, v23
	ds_write_b64 v6, v[28:29] offset:800
	ds_write2_b64 v4, v[0:1], v[2:3] offset1:50
	ds_write_b64 v4, v[18:19] offset:800
	s_waitcnt lgkmcnt(0)
	s_barrier
	ds_read2_b64 v[8:11], v196 offset1:135
	ds_read2_b64 v[18:21], v99 offset0:70 offset1:205
	ds_read2_b64 v[14:17], v151 offset0:12 offset1:147
	v_accvgpr_read_b32 v62, a180
	v_accvgpr_read_b32 v63, a181
	;; [unrolled: 1-line block ×3, first 2 shown]
	s_waitcnt lgkmcnt(1)
	v_pk_mul_f32 v[0:1], v[116:117], v[18:19] op_sel:[1,0]
	v_accvgpr_read_b32 v68, a186
	v_pk_fma_f32 v[58:59], v[116:117], v[18:19], v[0:1] op_sel:[0,0,1] op_sel_hi:[1,1,0]
	v_pk_fma_f32 v[0:1], v[116:117], v[18:19], v[0:1] op_sel:[0,0,1] op_sel_hi:[0,1,0] neg_lo:[0,0,1] neg_hi:[0,0,1]
	v_accvgpr_read_b32 v0, a172
	v_mov_b32_e32 v59, v1
	s_waitcnt lgkmcnt(0)
	v_pk_mul_f32 v[0:1], v[0:1], v[14:15] op_sel_hi:[0,1]
	v_pk_fma_f32 v[60:61], v[118:119], v[14:15], v[0:1] op_sel:[0,0,1] op_sel_hi:[1,1,0]
	v_pk_fma_f32 v[0:1], v[118:119], v[14:15], v[0:1] op_sel:[0,0,1] op_sel_hi:[0,1,0] neg_lo:[0,0,1] neg_hi:[0,0,1]
	v_mov_b32_e32 v61, v1
	v_pk_add_f32 v[0:1], v[8:9], v[58:59]
	v_accvgpr_read_b32 v69, a187
	v_pk_add_f32 v[54:55], v[0:1], v[60:61]
	ds_read2_b64 v[0:3], v183 offset0:56 offset1:191
	ds_read2_b64 v[4:7], v155 offset0:62 offset1:197
	;; [unrolled: 1-line block ×3, first 2 shown]
	v_accvgpr_read_b32 v70, a188
	v_accvgpr_read_b32 v140, a204
	v_accvgpr_read_b32 v141, a205
	s_waitcnt lgkmcnt(1)
	v_pk_mul_f32 v[22:23], v[44:45], v[6:7] op_sel:[1,0]
	v_accvgpr_read_b32 v142, a206
	v_pk_fma_f32 v[18:19], v[44:45], v[6:7], v[22:23] op_sel:[0,0,1] op_sel_hi:[1,1,0]
	v_pk_fma_f32 v[6:7], v[44:45], v[6:7], v[22:23] op_sel:[0,0,1] op_sel_hi:[0,1,0] neg_lo:[0,0,1] neg_hi:[0,0,1]
	v_accvgpr_read_b32 v6, a174
	v_mov_b32_e32 v19, v7
	s_waitcnt lgkmcnt(0)
	v_pk_mul_f32 v[6:7], v[6:7], v[14:15] op_sel_hi:[0,1]
	v_pk_fma_f32 v[26:27], v[46:47], v[14:15], v[6:7] op_sel:[0,0,1] op_sel_hi:[1,1,0]
	v_pk_fma_f32 v[6:7], v[46:47], v[14:15], v[6:7] op_sel:[0,0,1] op_sel_hi:[0,1,0] neg_lo:[0,0,1] neg_hi:[0,0,1]
	v_mov_b32_e32 v27, v7
	v_pk_add_f32 v[6:7], v[18:19], v[26:27]
	v_pk_add_f32 v[14:15], v[18:19], v[26:27] neg_lo:[0,1] neg_hi:[0,1]
	v_pk_fma_f32 v[6:7], v[6:7], 0.5, v[2:3] op_sel_hi:[1,0,1] neg_lo:[1,0,0] neg_hi:[1,0,0]
	v_pk_mul_f32 v[14:15], v[14:15], s[10:11] op_sel_hi:[1,0]
	s_nop 0
	v_pk_add_f32 v[28:29], v[6:7], v[14:15] op_sel:[0,1] op_sel_hi:[1,0]
	v_pk_add_f32 v[30:31], v[6:7], v[14:15] op_sel:[0,1] op_sel_hi:[1,0] neg_lo:[0,1] neg_hi:[0,1]
	v_pk_mul_f32 v[6:7], v[120:121], v[4:5] op_sel:[1,0]
	s_nop 0
	v_pk_fma_f32 v[32:33], v[120:121], v[4:5], v[6:7] op_sel:[0,0,1] op_sel_hi:[1,1,0]
	v_pk_fma_f32 v[4:5], v[120:121], v[4:5], v[6:7] op_sel:[0,0,1] op_sel_hi:[0,1,0] neg_lo:[0,0,1] neg_hi:[0,0,1]
	v_accvgpr_read_b32 v4, a176
	v_mov_b32_e32 v33, v5
	v_pk_mul_f32 v[4:5], v[4:5], v[12:13] op_sel_hi:[0,1]
	v_pk_fma_f32 v[34:35], v[122:123], v[12:13], v[4:5] op_sel:[0,0,1] op_sel_hi:[1,1,0]
	v_pk_fma_f32 v[4:5], v[122:123], v[12:13], v[4:5] op_sel:[0,0,1] op_sel_hi:[0,1,0] neg_lo:[0,0,1] neg_hi:[0,0,1]
	v_mov_b32_e32 v35, v5
	v_pk_add_f32 v[4:5], v[32:33], v[34:35]
	v_pk_add_f32 v[6:7], v[32:33], v[34:35] neg_lo:[0,1] neg_hi:[0,1]
	v_pk_fma_f32 v[4:5], v[4:5], 0.5, v[0:1] op_sel_hi:[1,0,1] neg_lo:[1,0,0] neg_hi:[1,0,0]
	v_pk_mul_f32 v[6:7], v[6:7], s[10:11] op_sel_hi:[1,0]
	v_mov_b32_e32 v122, v47
	v_pk_add_f32 v[36:37], v[4:5], v[6:7] op_sel:[0,1] op_sel_hi:[1,0]
	v_pk_add_f32 v[38:39], v[4:5], v[6:7] op_sel:[0,1] op_sel_hi:[1,0] neg_lo:[0,1] neg_hi:[0,1]
	ds_read2_b64 v[4:7], v187 offset0:42 offset1:177
	ds_read2_b64 v[12:15], v47 offset0:112 offset1:247
	;; [unrolled: 1-line block ×3, first 2 shown]
	v_pk_add_f32 v[0:1], v[0:1], v[32:33]
	s_waitcnt lgkmcnt(1)
	v_pk_mul_f32 v[40:41], v[112:113], v[14:15] op_sel:[1,0]
	s_nop 0
	v_pk_fma_f32 v[48:49], v[112:113], v[14:15], v[40:41] op_sel:[0,0,1] op_sel_hi:[1,1,0]
	v_pk_fma_f32 v[14:15], v[112:113], v[14:15], v[40:41] op_sel:[0,0,1] op_sel_hi:[0,1,0] neg_lo:[0,0,1] neg_hi:[0,0,1]
	v_accvgpr_read_b32 v14, a178
	v_mov_b32_e32 v49, v15
	s_waitcnt lgkmcnt(0)
	v_pk_mul_f32 v[14:15], v[14:15], v[24:25] op_sel_hi:[0,1]
	v_pk_fma_f32 v[46:47], v[114:115], v[24:25], v[14:15] op_sel:[0,0,1] op_sel_hi:[1,1,0]
	v_pk_fma_f32 v[14:15], v[114:115], v[24:25], v[14:15] op_sel:[0,0,1] op_sel_hi:[0,1,0] neg_lo:[0,0,1] neg_hi:[0,0,1]
	v_mov_b32_e32 v47, v15
	v_pk_add_f32 v[14:15], v[48:49], v[46:47]
	v_pk_add_f32 v[24:25], v[48:49], v[46:47] neg_lo:[0,1] neg_hi:[0,1]
	v_pk_fma_f32 v[14:15], v[14:15], 0.5, v[6:7] op_sel_hi:[1,0,1] neg_lo:[1,0,0] neg_hi:[1,0,0]
	v_pk_mul_f32 v[24:25], v[24:25], s[10:11] op_sel_hi:[1,0]
	v_accvgpr_read_b32 v112, a198
	v_pk_add_f32 v[40:41], v[14:15], v[24:25] op_sel:[0,1] op_sel_hi:[1,0]
	v_pk_add_f32 v[44:45], v[14:15], v[24:25] op_sel:[0,1] op_sel_hi:[1,0] neg_lo:[0,1] neg_hi:[0,1]
	v_pk_mul_f32 v[14:15], v[62:63], v[12:13] op_sel:[1,0]
	v_accvgpr_read_b32 v113, a199
	v_pk_fma_f32 v[52:53], v[62:63], v[12:13], v[14:15] op_sel:[0,0,1] op_sel_hi:[1,1,0]
	v_pk_fma_f32 v[12:13], v[62:63], v[12:13], v[14:15] op_sel:[0,0,1] op_sel_hi:[0,1,0] neg_lo:[0,0,1] neg_hi:[0,0,1]
	v_accvgpr_read_b32 v12, a184
	v_mov_b32_e32 v53, v13
	v_pk_mul_f32 v[12:13], v[12:13], v[22:23] op_sel_hi:[0,1]
	v_pk_fma_f32 v[56:57], v[64:65], v[22:23], v[12:13] op_sel:[0,0,1] op_sel_hi:[1,1,0]
	v_pk_fma_f32 v[12:13], v[64:65], v[22:23], v[12:13] op_sel:[0,0,1] op_sel_hi:[0,1,0] neg_lo:[0,0,1] neg_hi:[0,0,1]
	v_mov_b32_e32 v57, v13
	v_pk_add_f32 v[12:13], v[52:53], v[56:57]
	v_pk_add_f32 v[14:15], v[52:53], v[56:57] neg_lo:[0,1] neg_hi:[0,1]
	v_pk_fma_f32 v[12:13], v[12:13], 0.5, v[4:5] op_sel_hi:[1,0,1] neg_lo:[1,0,0] neg_hi:[1,0,0]
	v_pk_mul_f32 v[14:15], v[14:15], s[10:11] op_sel_hi:[1,0]
	v_accvgpr_read_b32 v114, a200
	v_pk_add_f32 v[50:51], v[12:13], v[14:15] op_sel:[0,1] op_sel_hi:[1,0]
	v_pk_add_f32 v[42:43], v[12:13], v[14:15] op_sel:[0,1] op_sel_hi:[1,0] neg_lo:[0,1] neg_hi:[0,1]
	ds_read2_b64 v[12:15], v139 offset0:28 offset1:163
	ds_read2_b64 v[22:25], v119 offset0:98 offset1:233
	;; [unrolled: 1-line block ×3, first 2 shown]
	v_pk_add_f32 v[4:5], v[4:5], v[52:53]
	v_pk_add_f32 v[0:1], v[0:1], v[34:35]
	;; [unrolled: 1-line block ×3, first 2 shown]
	s_waitcnt lgkmcnt(1)
	v_pk_mul_f32 v[62:63], v[68:69], v[24:25] op_sel:[1,0]
	s_nop 0
	v_pk_fma_f32 v[66:67], v[68:69], v[24:25], v[62:63] op_sel:[0,0,1] op_sel_hi:[1,1,0]
	v_pk_fma_f32 v[24:25], v[68:69], v[24:25], v[62:63] op_sel:[0,0,1] op_sel_hi:[0,1,0] neg_lo:[0,0,1] neg_hi:[0,0,1]
	v_accvgpr_read_b32 v24, a190
	v_mov_b32_e32 v67, v25
	s_waitcnt lgkmcnt(0)
	v_pk_mul_f32 v[24:25], v[24:25], v[76:77] op_sel_hi:[0,1]
	v_pk_fma_f32 v[62:63], v[70:71], v[76:77], v[24:25] op_sel:[0,0,1] op_sel_hi:[1,1,0]
	v_pk_fma_f32 v[24:25], v[70:71], v[76:77], v[24:25] op_sel:[0,0,1] op_sel_hi:[0,1,0] neg_lo:[0,0,1] neg_hi:[0,0,1]
	v_mov_b32_e32 v63, v25
	v_pk_add_f32 v[24:25], v[66:67], v[62:63]
	v_pk_add_f32 v[64:65], v[66:67], v[62:63] neg_lo:[0,1] neg_hi:[0,1]
	v_accvgpr_read_b32 v76, a192
	v_pk_fma_f32 v[24:25], v[24:25], 0.5, v[14:15] op_sel_hi:[1,0,1] neg_lo:[1,0,0] neg_hi:[1,0,0]
	v_pk_mul_f32 v[68:69], v[64:65], s[10:11] op_sel_hi:[1,0]
	v_accvgpr_read_b32 v77, a193
	v_pk_add_f32 v[64:65], v[24:25], v[68:69] op_sel:[0,1] op_sel_hi:[1,0]
	v_pk_add_f32 v[68:69], v[24:25], v[68:69] op_sel:[0,1] op_sel_hi:[1,0] neg_lo:[0,1] neg_hi:[0,1]
	v_pk_mul_f32 v[24:25], v[76:77], v[22:23] op_sel:[1,0]
	v_accvgpr_read_b32 v78, a194
	v_pk_fma_f32 v[70:71], v[76:77], v[22:23], v[24:25] op_sel:[0,0,1] op_sel_hi:[1,1,0]
	v_pk_fma_f32 v[22:23], v[76:77], v[22:23], v[24:25] op_sel:[0,0,1] op_sel_hi:[0,1,0] neg_lo:[0,0,1] neg_hi:[0,0,1]
	v_accvgpr_read_b32 v22, a196
	v_mov_b32_e32 v71, v23
	v_pk_mul_f32 v[22:23], v[22:23], v[74:75] op_sel_hi:[0,1]
	v_pk_fma_f32 v[72:73], v[78:79], v[74:75], v[22:23] op_sel:[0,0,1] op_sel_hi:[1,1,0]
	v_pk_fma_f32 v[22:23], v[78:79], v[74:75], v[22:23] op_sel:[0,0,1] op_sel_hi:[0,1,0] neg_lo:[0,0,1] neg_hi:[0,0,1]
	v_mov_b32_e32 v73, v23
	v_pk_add_f32 v[22:23], v[70:71], v[72:73]
	v_pk_add_f32 v[24:25], v[70:71], v[72:73] neg_lo:[0,1] neg_hi:[0,1]
	v_pk_fma_f32 v[22:23], v[22:23], 0.5, v[12:13] op_sel_hi:[1,0,1] neg_lo:[1,0,0] neg_hi:[1,0,0]
	v_pk_mul_f32 v[24:25], v[24:25], s[10:11] op_sel_hi:[1,0]
	s_nop 0
	v_pk_add_f32 v[74:75], v[22:23], v[24:25] op_sel:[0,1] op_sel_hi:[1,0]
	v_pk_add_f32 v[76:77], v[22:23], v[24:25] op_sel:[0,1] op_sel_hi:[1,0] neg_lo:[0,1] neg_hi:[0,1]
	ds_read2_b64 v[22:25], v197 offset0:14 offset1:149
	ds_read2_b64 v[124:127], v207 offset0:84 offset1:219
	;; [unrolled: 1-line block ×3, first 2 shown]
	s_waitcnt lgkmcnt(0)
	s_barrier
	v_pk_mul_f32 v[78:79], v[112:113], v[126:127] op_sel:[1,0]
	s_nop 0
	v_pk_fma_f32 v[84:85], v[112:113], v[126:127], v[78:79] op_sel:[0,0,1] op_sel_hi:[1,1,0]
	v_pk_fma_f32 v[78:79], v[112:113], v[126:127], v[78:79] op_sel:[0,0,1] op_sel_hi:[0,1,0] neg_lo:[0,0,1] neg_hi:[0,0,1]
	v_accvgpr_read_b32 v78, a202
	v_pk_mul_f32 v[82:83], v[78:79], v[134:135] op_sel_hi:[0,1]
	v_mov_b32_e32 v85, v79
	v_pk_fma_f32 v[78:79], v[114:115], v[134:135], v[82:83] op_sel:[0,0,1] op_sel_hi:[1,1,0]
	v_pk_fma_f32 v[82:83], v[114:115], v[134:135], v[82:83] op_sel:[0,0,1] op_sel_hi:[0,1,0] neg_lo:[0,0,1] neg_hi:[0,0,1]
	v_mov_b32_e32 v79, v83
	v_pk_add_f32 v[82:83], v[84:85], v[78:79]
	s_nop 0
	v_pk_fma_f32 v[86:87], v[82:83], 0.5, v[24:25] op_sel_hi:[1,0,1] neg_lo:[1,0,0] neg_hi:[1,0,0]
	v_pk_add_f32 v[82:83], v[84:85], v[78:79] neg_lo:[0,1] neg_hi:[0,1]
	s_nop 0
	v_pk_mul_f32 v[112:113], v[82:83], s[10:11] op_sel_hi:[1,0]
	s_nop 0
	v_pk_add_f32 v[82:83], v[86:87], v[112:113] op_sel:[0,1] op_sel_hi:[1,0]
	v_pk_add_f32 v[86:87], v[86:87], v[112:113] op_sel:[0,1] op_sel_hi:[1,0] neg_lo:[0,1] neg_hi:[0,1]
	v_pk_mul_f32 v[112:113], v[140:141], v[124:125] op_sel:[1,0]
	s_nop 0
	v_pk_fma_f32 v[116:117], v[140:141], v[124:125], v[112:113] op_sel:[0,0,1] op_sel_hi:[1,1,0]
	v_pk_fma_f32 v[112:113], v[140:141], v[124:125], v[112:113] op_sel:[0,0,1] op_sel_hi:[0,1,0] neg_lo:[0,0,1] neg_hi:[0,0,1]
	v_accvgpr_read_b32 v112, a208
	v_mov_b32_e32 v117, v113
	v_pk_mul_f32 v[112:113], v[112:113], v[132:133] op_sel_hi:[0,1]
	v_pk_fma_f32 v[120:121], v[142:143], v[132:133], v[112:113] op_sel:[0,0,1] op_sel_hi:[1,1,0]
	v_pk_fma_f32 v[112:113], v[142:143], v[132:133], v[112:113] op_sel:[0,0,1] op_sel_hi:[0,1,0] neg_lo:[0,0,1] neg_hi:[0,0,1]
	v_mov_b32_e32 v121, v113
	v_pk_add_f32 v[112:113], v[116:117], v[120:121]
	v_pk_add_f32 v[124:125], v[116:117], v[120:121] neg_lo:[0,1] neg_hi:[0,1]
	v_accvgpr_read_b32 v140, a210
	v_pk_fma_f32 v[112:113], v[112:113], 0.5, v[22:23] op_sel_hi:[1,0,1] neg_lo:[1,0,0] neg_hi:[1,0,0]
	v_pk_mul_f32 v[124:125], v[124:125], s[10:11] op_sel_hi:[1,0]
	v_accvgpr_read_b32 v141, a211
	v_pk_add_f32 v[126:127], v[112:113], v[124:125] op_sel:[0,1] op_sel_hi:[1,0]
	v_pk_add_f32 v[112:113], v[112:113], v[124:125] op_sel:[0,1] op_sel_hi:[1,0] neg_lo:[0,1] neg_hi:[0,1]
	v_pk_mul_f32 v[124:125], v[140:141], v[20:21] op_sel:[1,0]
	v_accvgpr_read_b32 v142, a212
	v_pk_fma_f32 v[132:133], v[140:141], v[20:21], v[124:125] op_sel:[0,0,1] op_sel_hi:[1,1,0]
	v_pk_fma_f32 v[20:21], v[140:141], v[20:21], v[124:125] op_sel:[0,0,1] op_sel_hi:[0,1,0] neg_lo:[0,0,1] neg_hi:[0,0,1]
	v_accvgpr_read_b32 v20, a214
	v_mov_b32_e32 v133, v21
	v_pk_mul_f32 v[20:21], v[20:21], v[16:17] op_sel_hi:[0,1]
	v_pk_fma_f32 v[124:125], v[142:143], v[16:17], v[20:21] op_sel:[0,0,1] op_sel_hi:[1,1,0]
	v_pk_fma_f32 v[16:17], v[142:143], v[16:17], v[20:21] op_sel:[0,0,1] op_sel_hi:[0,1,0] neg_lo:[0,0,1] neg_hi:[0,0,1]
	v_pk_add_f32 v[20:21], v[58:59], v[60:61]
	v_mov_b32_e32 v125, v17
	v_pk_fma_f32 v[8:9], v[20:21], 0.5, v[8:9] op_sel_hi:[1,0,1] neg_lo:[1,0,0] neg_hi:[1,0,0]
	v_pk_add_f32 v[20:21], v[58:59], v[60:61] neg_lo:[0,1] neg_hi:[0,1]
	v_pk_add_f32 v[16:17], v[10:11], v[132:133]
	v_pk_mul_f32 v[20:21], v[20:21], s[10:11] op_sel_hi:[1,0]
	v_pk_add_f32 v[16:17], v[16:17], v[124:125]
	v_pk_add_f32 v[58:59], v[8:9], v[20:21] op_sel:[0,1] op_sel_hi:[1,0]
	v_pk_add_f32 v[8:9], v[8:9], v[20:21] op_sel:[0,1] op_sel_hi:[1,0] neg_lo:[0,1] neg_hi:[0,1]
	v_mov_b32_e32 v21, v59
	v_mov_b32_e32 v20, v8
	;; [unrolled: 1-line block ×3, first 2 shown]
	v_pk_add_f32 v[8:9], v[132:133], v[124:125]
	ds_write2_b64 v196, v[54:55], v[20:21] offset1:150
	v_pk_fma_f32 v[8:9], v[8:9], 0.5, v[10:11] op_sel_hi:[1,0,1] neg_lo:[1,0,0] neg_hi:[1,0,0]
	v_pk_add_f32 v[10:11], v[132:133], v[124:125] neg_lo:[0,1] neg_hi:[0,1]
	ds_write_b64 v196, v[58:59] offset:2400
	v_pk_mul_f32 v[10:11], v[10:11], s[10:11] op_sel_hi:[1,0]
	s_nop 0
	v_pk_add_f32 v[20:21], v[8:9], v[10:11] op_sel:[0,1] op_sel_hi:[1,0] neg_lo:[0,1] neg_hi:[0,1]
	v_pk_add_f32 v[8:9], v[8:9], v[10:11] op_sel:[0,1] op_sel_hi:[1,0]
	v_mov_b32_e32 v10, v20
	v_mov_b32_e32 v11, v9
	v_accvgpr_read_b32 v20, a97
	v_mov_b32_e32 v9, v21
	ds_write_b64 v20, v[8:9] offset:2400
	v_pk_add_f32 v[8:9], v[22:23], v[116:117]
	ds_write2_b64 v20, v[16:17], v[10:11] offset1:150
	v_pk_add_f32 v[8:9], v[8:9], v[120:121]
	v_mov_b32_e32 v10, v112
	v_mov_b32_e32 v11, v127
	v_accvgpr_read_b32 v16, a123
	ds_write2_b64 v16, v[8:9], v[10:11] offset1:150
	v_mov_b32_e32 v127, v113
	v_pk_add_f32 v[8:9], v[24:25], v[84:85]
	ds_write_b64 v16, v[126:127] offset:2400
	v_pk_add_f32 v[8:9], v[8:9], v[78:79]
	v_mov_b32_e32 v10, v86
	v_mov_b32_e32 v11, v83
	v_accvgpr_read_b32 v16, a93
	ds_write2_b64 v16, v[8:9], v[10:11] offset1:150
	v_pk_add_f32 v[8:9], v[12:13], v[70:71]
	v_mov_b32_e32 v83, v87
	v_pk_add_f32 v[8:9], v[8:9], v[72:73]
	v_mov_b32_e32 v10, v76
	v_mov_b32_e32 v11, v75
	v_accvgpr_read_b32 v12, a127
	ds_write_b64 v16, v[82:83] offset:2400
	ds_write2_b64 v12, v[8:9], v[10:11] offset1:150
	v_mov_b32_e32 v75, v77
	v_pk_add_f32 v[8:9], v[14:15], v[66:67]
	ds_write_b64 v12, v[74:75] offset:2400
	v_pk_add_f32 v[8:9], v[8:9], v[62:63]
	v_mov_b32_e32 v10, v68
	v_mov_b32_e32 v11, v65
	v_accvgpr_read_b32 v12, a91
	ds_write2_b64 v12, v[8:9], v[10:11] offset1:150
	v_mov_b32_e32 v65, v69
	v_mov_b32_e32 v8, v42
	v_mov_b32_e32 v9, v51
	v_accvgpr_read_b32 v10, a129
	ds_write_b64 v12, v[64:65] offset:2400
	ds_write2_b64 v10, v[4:5], v[8:9] offset1:150
	v_pk_add_f32 v[4:5], v[6:7], v[48:49]
	v_mov_b32_e32 v51, v43
	v_pk_add_f32 v[4:5], v[4:5], v[46:47]
	v_mov_b32_e32 v6, v44
	v_mov_b32_e32 v7, v41
	v_accvgpr_read_b32 v8, a87
	ds_write_b64 v10, v[50:51] offset:2400
	ds_write2_b64 v8, v[4:5], v[6:7] offset1:150
	v_mov_b32_e32 v41, v45
	v_mov_b32_e32 v4, v38
	;; [unrolled: 1-line block ×3, first 2 shown]
	ds_write_b64 v8, v[40:41] offset:2400
	ds_write2_b64 v115, v[0:1], v[4:5] offset1:150
	v_pk_add_f32 v[0:1], v[2:3], v[18:19]
	v_mov_b32_e32 v37, v39
	v_pk_add_f32 v[0:1], v[0:1], v[26:27]
	v_mov_b32_e32 v2, v30
	v_mov_b32_e32 v3, v29
	v_accvgpr_read_b32 v4, a133
	ds_write_b64 v115, v[36:37] offset:2400
	ds_write2_b64 v4, v[0:1], v[2:3] offset0:16 offset1:166
	v_mov_b32_e32 v29, v31
	v_accvgpr_read_b32 v0, a131
	ds_write_b64 v0, v[28:29] offset:31200
	s_waitcnt lgkmcnt(0)
	s_barrier
	ds_read2_b64 v[8:11], v196 offset1:135
	ds_read2_b64 v[0:3], v99 offset0:70 offset1:205
	ds_read2_b64 v[4:7], v151 offset0:12 offset1:147
	v_mov_b32_e32 v116, v103
	s_waitcnt lgkmcnt(1)
	v_pk_mul_f32 v[12:13], v[164:165], v[0:1] op_sel:[1,0]
	s_nop 0
	v_pk_fma_f32 v[46:47], v[164:165], v[0:1], v[12:13] op_sel:[0,0,1] op_sel_hi:[1,1,0]
	v_pk_fma_f32 v[0:1], v[164:165], v[0:1], v[12:13] op_sel:[0,0,1] op_sel_hi:[0,1,0] neg_lo:[0,0,1] neg_hi:[0,0,1]
	v_accvgpr_read_b32 v0, a216
	v_mov_b32_e32 v47, v1
	s_waitcnt lgkmcnt(0)
	v_pk_mul_f32 v[0:1], v[0:1], v[4:5] op_sel_hi:[0,1]
	v_pk_fma_f32 v[54:55], v[166:167], v[4:5], v[0:1] op_sel:[0,0,1] op_sel_hi:[1,1,0]
	v_pk_fma_f32 v[0:1], v[166:167], v[4:5], v[0:1] op_sel:[0,0,1] op_sel_hi:[0,1,0] neg_lo:[0,0,1] neg_hi:[0,0,1]
	v_mov_b32_e32 v55, v1
	v_pk_add_f32 v[0:1], v[8:9], v[46:47]
	s_nop 0
	v_pk_add_f32 v[40:41], v[0:1], v[54:55]
	v_pk_mul_f32 v[0:1], v[160:161], v[2:3] op_sel:[1,0]
	s_nop 0
	v_pk_fma_f32 v[42:43], v[160:161], v[2:3], v[0:1] op_sel:[0,0,1] op_sel_hi:[1,1,0]
	v_pk_fma_f32 v[0:1], v[160:161], v[2:3], v[0:1] op_sel:[0,0,1] op_sel_hi:[0,1,0] neg_lo:[0,0,1] neg_hi:[0,0,1]
	v_accvgpr_read_b32 v0, a220
	v_mov_b32_e32 v43, v1
	v_pk_mul_f32 v[0:1], v[0:1], v[6:7] op_sel_hi:[0,1]
	v_pk_fma_f32 v[44:45], v[162:163], v[6:7], v[0:1] op_sel:[0,0,1] op_sel_hi:[1,1,0]
	v_pk_fma_f32 v[0:1], v[162:163], v[6:7], v[0:1] op_sel:[0,0,1] op_sel_hi:[0,1,0] neg_lo:[0,0,1] neg_hi:[0,0,1]
	ds_read2_b64 v[4:7], v197 offset0:14 offset1:149
	ds_read2_b64 v[18:21], v207 offset0:84 offset1:219
	;; [unrolled: 1-line block ×3, first 2 shown]
	v_mov_b32_e32 v45, v1
	v_pk_add_f32 v[0:1], v[10:11], v[42:43]
	v_mov_b32_e32 v103, v122
	v_pk_add_f32 v[50:51], v[0:1], v[44:45]
	s_waitcnt lgkmcnt(1)
	v_pk_mul_f32 v[0:1], v[156:157], v[18:19] op_sel:[1,0]
	s_nop 0
	v_pk_fma_f32 v[48:49], v[156:157], v[18:19], v[0:1] op_sel:[0,0,1] op_sel_hi:[1,1,0]
	v_pk_fma_f32 v[0:1], v[156:157], v[18:19], v[0:1] op_sel:[0,0,1] op_sel_hi:[0,1,0] neg_lo:[0,0,1] neg_hi:[0,0,1]
	v_accvgpr_read_b32 v0, a218
	v_mov_b32_e32 v49, v1
	s_waitcnt lgkmcnt(0)
	v_pk_mul_f32 v[0:1], v[0:1], v[14:15] op_sel_hi:[0,1]
	v_pk_fma_f32 v[52:53], v[158:159], v[14:15], v[0:1] op_sel:[0,0,1] op_sel_hi:[1,1,0]
	v_pk_fma_f32 v[0:1], v[158:159], v[14:15], v[0:1] op_sel:[0,0,1] op_sel_hi:[0,1,0] neg_lo:[0,0,1] neg_hi:[0,0,1]
	v_mov_b32_e32 v53, v1
	v_pk_add_f32 v[0:1], v[4:5], v[48:49]
	s_nop 0
	v_pk_add_f32 v[56:57], v[0:1], v[52:53]
	ds_read2_b64 v[0:3], v183 offset0:56 offset1:191
	ds_read2_b64 v[12:15], v155 offset0:62 offset1:197
	;; [unrolled: 1-line block ×3, first 2 shown]
	s_waitcnt lgkmcnt(1)
	v_pk_mul_f32 v[26:27], v[152:153], v[14:15] op_sel:[1,0]
	s_nop 0
	v_pk_fma_f32 v[18:19], v[152:153], v[14:15], v[26:27] op_sel:[0,0,1] op_sel_hi:[1,1,0]
	v_pk_fma_f32 v[14:15], v[152:153], v[14:15], v[26:27] op_sel:[0,0,1] op_sel_hi:[0,1,0] neg_lo:[0,0,1] neg_hi:[0,0,1]
	v_accvgpr_read_b32 v14, a222
	v_mov_b32_e32 v19, v15
	s_waitcnt lgkmcnt(0)
	v_pk_mul_f32 v[14:15], v[14:15], v[24:25] op_sel_hi:[0,1]
	v_pk_fma_f32 v[28:29], v[154:155], v[24:25], v[14:15] op_sel:[0,0,1] op_sel_hi:[1,1,0]
	v_pk_fma_f32 v[14:15], v[154:155], v[24:25], v[14:15] op_sel:[0,0,1] op_sel_hi:[0,1,0] neg_lo:[0,0,1] neg_hi:[0,0,1]
	v_mov_b32_e32 v29, v15
	v_pk_add_f32 v[14:15], v[18:19], v[28:29]
	v_pk_add_f32 v[24:25], v[18:19], v[28:29] neg_lo:[0,1] neg_hi:[0,1]
	v_pk_fma_f32 v[14:15], v[14:15], 0.5, v[2:3] op_sel_hi:[1,0,1] neg_lo:[1,0,0] neg_hi:[1,0,0]
	v_pk_mul_f32 v[24:25], v[24:25], s[10:11] op_sel_hi:[1,0]
	s_nop 0
	v_pk_add_f32 v[26:27], v[14:15], v[24:25] op_sel:[0,1] op_sel_hi:[1,0]
	v_pk_add_f32 v[30:31], v[14:15], v[24:25] op_sel:[0,1] op_sel_hi:[1,0] neg_lo:[0,1] neg_hi:[0,1]
	v_pk_mul_f32 v[14:15], v[148:149], v[12:13] op_sel:[1,0]
	s_nop 0
	v_pk_fma_f32 v[32:33], v[148:149], v[12:13], v[14:15] op_sel:[0,0,1] op_sel_hi:[1,1,0]
	v_pk_fma_f32 v[12:13], v[148:149], v[12:13], v[14:15] op_sel:[0,0,1] op_sel_hi:[0,1,0] neg_lo:[0,0,1] neg_hi:[0,0,1]
	v_accvgpr_read_b32 v12, a224
	v_mov_b32_e32 v33, v13
	v_pk_mul_f32 v[12:13], v[12:13], v[22:23] op_sel_hi:[0,1]
	v_pk_fma_f32 v[36:37], v[150:151], v[22:23], v[12:13] op_sel:[0,0,1] op_sel_hi:[1,1,0]
	v_pk_fma_f32 v[12:13], v[150:151], v[22:23], v[12:13] op_sel:[0,0,1] op_sel_hi:[0,1,0] neg_lo:[0,0,1] neg_hi:[0,0,1]
	v_mov_b32_e32 v37, v13
	v_pk_add_f32 v[12:13], v[32:33], v[36:37]
	v_pk_add_f32 v[14:15], v[32:33], v[36:37] neg_lo:[0,1] neg_hi:[0,1]
	v_pk_fma_f32 v[12:13], v[12:13], 0.5, v[0:1] op_sel_hi:[1,0,1] neg_lo:[1,0,0] neg_hi:[1,0,0]
	v_pk_mul_f32 v[14:15], v[14:15], s[10:11] op_sel_hi:[1,0]
	v_pk_add_f32 v[0:1], v[0:1], v[32:33]
	v_pk_add_f32 v[34:35], v[12:13], v[14:15] op_sel:[0,1] op_sel_hi:[1,0]
	v_pk_add_f32 v[38:39], v[12:13], v[14:15] op_sel:[0,1] op_sel_hi:[1,0] neg_lo:[0,1] neg_hi:[0,1]
	ds_read2_b64 v[12:15], v187 offset0:42 offset1:177
	ds_read2_b64 v[22:25], v122 offset0:112 offset1:247
	;; [unrolled: 1-line block ×3, first 2 shown]
	v_pk_add_f32 v[0:1], v[0:1], v[36:37]
	s_waitcnt lgkmcnt(1)
	v_pk_mul_f32 v[60:61], v[144:145], v[24:25] op_sel:[1,0]
	s_nop 0
	v_pk_fma_f32 v[58:59], v[144:145], v[24:25], v[60:61] op_sel:[0,0,1] op_sel_hi:[1,1,0]
	v_pk_fma_f32 v[24:25], v[144:145], v[24:25], v[60:61] op_sel:[0,0,1] op_sel_hi:[0,1,0] neg_lo:[0,0,1] neg_hi:[0,0,1]
	v_accvgpr_read_b32 v24, a226
	v_mov_b32_e32 v59, v25
	s_waitcnt lgkmcnt(0)
	v_pk_mul_f32 v[24:25], v[24:25], v[70:71] op_sel_hi:[0,1]
	v_pk_fma_f32 v[62:63], v[146:147], v[70:71], v[24:25] op_sel:[0,0,1] op_sel_hi:[1,1,0]
	v_pk_fma_f32 v[24:25], v[146:147], v[70:71], v[24:25] op_sel:[0,0,1] op_sel_hi:[0,1,0] neg_lo:[0,0,1] neg_hi:[0,0,1]
	v_mov_b32_e32 v63, v25
	v_pk_add_f32 v[24:25], v[58:59], v[62:63]
	v_pk_add_f32 v[60:61], v[58:59], v[62:63] neg_lo:[0,1] neg_hi:[0,1]
	v_pk_fma_f32 v[24:25], v[24:25], 0.5, v[14:15] op_sel_hi:[1,0,1] neg_lo:[1,0,0] neg_hi:[1,0,0]
	v_pk_mul_f32 v[64:65], v[60:61], s[10:11] op_sel_hi:[1,0]
	s_nop 0
	v_pk_add_f32 v[60:61], v[24:25], v[64:65] op_sel:[0,1] op_sel_hi:[1,0]
	v_pk_add_f32 v[64:65], v[24:25], v[64:65] op_sel:[0,1] op_sel_hi:[1,0] neg_lo:[0,1] neg_hi:[0,1]
	v_pk_mul_f32 v[24:25], v[104:105], v[22:23] op_sel:[1,0]
	s_nop 0
	v_pk_fma_f32 v[66:67], v[104:105], v[22:23], v[24:25] op_sel:[0,0,1] op_sel_hi:[1,1,0]
	v_pk_fma_f32 v[22:23], v[104:105], v[22:23], v[24:25] op_sel:[0,0,1] op_sel_hi:[0,1,0] neg_lo:[0,0,1] neg_hi:[0,0,1]
	v_accvgpr_read_b32 v22, a228
	v_mov_b32_e32 v67, v23
	v_pk_mul_f32 v[22:23], v[22:23], v[68:69] op_sel_hi:[0,1]
	v_pk_fma_f32 v[70:71], v[106:107], v[68:69], v[22:23] op_sel:[0,0,1] op_sel_hi:[1,1,0]
	v_pk_fma_f32 v[22:23], v[106:107], v[68:69], v[22:23] op_sel:[0,0,1] op_sel_hi:[0,1,0] neg_lo:[0,0,1] neg_hi:[0,0,1]
	v_mov_b32_e32 v71, v23
	v_pk_add_f32 v[22:23], v[66:67], v[70:71]
	v_pk_add_f32 v[24:25], v[66:67], v[70:71] neg_lo:[0,1] neg_hi:[0,1]
	v_pk_fma_f32 v[22:23], v[22:23], 0.5, v[12:13] op_sel_hi:[1,0,1] neg_lo:[1,0,0] neg_hi:[1,0,0]
	v_pk_mul_f32 v[24:25], v[24:25], s[10:11] op_sel_hi:[1,0]
	s_nop 0
	v_pk_add_f32 v[68:69], v[22:23], v[24:25] op_sel:[0,1] op_sel_hi:[1,0]
	v_pk_add_f32 v[72:73], v[22:23], v[24:25] op_sel:[0,1] op_sel_hi:[1,0] neg_lo:[0,1] neg_hi:[0,1]
	ds_read2_b64 v[22:25], v139 offset0:28 offset1:163
	ds_read2_b64 v[84:87], v119 offset0:98 offset1:233
	;; [unrolled: 1-line block ×3, first 2 shown]
	s_waitcnt lgkmcnt(0)
	s_barrier
	v_pk_mul_f32 v[74:75], v[136:137], v[86:87] op_sel:[1,0]
	s_nop 0
	v_pk_fma_f32 v[78:79], v[136:137], v[86:87], v[74:75] op_sel:[0,0,1] op_sel_hi:[1,1,0]
	v_pk_fma_f32 v[74:75], v[136:137], v[86:87], v[74:75] op_sel:[0,0,1] op_sel_hi:[0,1,0] neg_lo:[0,0,1] neg_hi:[0,0,1]
	v_accvgpr_read_b32 v74, a230
	v_mov_b32_e32 v79, v75
	v_pk_mul_f32 v[74:75], v[74:75], v[114:115] op_sel_hi:[0,1]
	v_pk_fma_f32 v[82:83], v[138:139], v[114:115], v[74:75] op_sel:[0,0,1] op_sel_hi:[1,1,0]
	v_pk_fma_f32 v[74:75], v[138:139], v[114:115], v[74:75] op_sel:[0,0,1] op_sel_hi:[0,1,0] neg_lo:[0,0,1] neg_hi:[0,0,1]
	v_mov_b32_e32 v83, v75
	v_pk_add_f32 v[74:75], v[78:79], v[82:83]
	s_nop 0
	v_pk_fma_f32 v[76:77], v[74:75], 0.5, v[24:25] op_sel_hi:[1,0,1] neg_lo:[1,0,0] neg_hi:[1,0,0]
	v_pk_add_f32 v[74:75], v[78:79], v[82:83] neg_lo:[0,1] neg_hi:[0,1]
	s_nop 0
	v_pk_mul_f32 v[86:87], v[74:75], s[10:11] op_sel_hi:[1,0]
	s_nop 0
	v_pk_add_f32 v[74:75], v[76:77], v[86:87] op_sel:[0,1] op_sel_hi:[1,0]
	v_pk_add_f32 v[76:77], v[76:77], v[86:87] op_sel:[0,1] op_sel_hi:[1,0] neg_lo:[0,1] neg_hi:[0,1]
	v_pk_mul_f32 v[86:87], v[108:109], v[84:85] op_sel:[1,0]
	s_nop 0
	v_pk_fma_f32 v[104:105], v[108:109], v[84:85], v[86:87] op_sel:[0,0,1] op_sel_hi:[1,1,0]
	v_pk_fma_f32 v[84:85], v[108:109], v[84:85], v[86:87] op_sel:[0,0,1] op_sel_hi:[0,1,0] neg_lo:[0,0,1] neg_hi:[0,0,1]
	v_accvgpr_read_b32 v84, a232
	v_mov_b32_e32 v105, v85
	v_pk_mul_f32 v[84:85], v[84:85], v[112:113] op_sel_hi:[0,1]
	v_pk_fma_f32 v[86:87], v[110:111], v[112:113], v[84:85] op_sel:[0,0,1] op_sel_hi:[1,1,0]
	v_pk_fma_f32 v[84:85], v[110:111], v[112:113], v[84:85] op_sel:[0,0,1] op_sel_hi:[0,1,0] neg_lo:[0,0,1] neg_hi:[0,0,1]
	v_mov_b32_e32 v87, v85
	v_pk_add_f32 v[84:85], v[104:105], v[86:87]
	s_nop 0
	v_pk_fma_f32 v[108:109], v[84:85], 0.5, v[22:23] op_sel_hi:[1,0,1] neg_lo:[1,0,0] neg_hi:[1,0,0]
	v_pk_add_f32 v[84:85], v[104:105], v[86:87] neg_lo:[0,1] neg_hi:[0,1]
	s_nop 0
	v_pk_mul_f32 v[112:113], v[84:85], s[10:11] op_sel_hi:[1,0]
	s_nop 0
	v_pk_add_f32 v[84:85], v[108:109], v[112:113] op_sel:[0,1] op_sel_hi:[1,0]
	v_pk_add_f32 v[108:109], v[108:109], v[112:113] op_sel:[0,1] op_sel_hi:[1,0] neg_lo:[0,1] neg_hi:[0,1]
	v_pk_mul_f32 v[112:113], v[128:129], v[20:21] op_sel:[1,0]
	s_nop 0
	v_pk_fma_f32 v[114:115], v[128:129], v[20:21], v[112:113] op_sel:[0,0,1] op_sel_hi:[1,1,0]
	v_pk_fma_f32 v[20:21], v[128:129], v[20:21], v[112:113] op_sel:[0,0,1] op_sel_hi:[0,1,0] neg_lo:[0,0,1] neg_hi:[0,0,1]
	v_accvgpr_read_b32 v20, a234
	v_mov_b32_e32 v115, v21
	v_pk_mul_f32 v[20:21], v[20:21], v[16:17] op_sel_hi:[0,1]
	v_pk_fma_f32 v[112:113], v[130:131], v[16:17], v[20:21] op_sel:[0,0,1] op_sel_hi:[1,1,0]
	v_pk_fma_f32 v[16:17], v[130:131], v[16:17], v[20:21] op_sel:[0,0,1] op_sel_hi:[0,1,0] neg_lo:[0,0,1] neg_hi:[0,0,1]
	v_pk_add_f32 v[20:21], v[46:47], v[54:55]
	v_mov_b32_e32 v113, v17
	v_pk_fma_f32 v[8:9], v[20:21], 0.5, v[8:9] op_sel_hi:[1,0,1] neg_lo:[1,0,0] neg_hi:[1,0,0]
	v_pk_add_f32 v[20:21], v[46:47], v[54:55] neg_lo:[0,1] neg_hi:[0,1]
	v_pk_add_f32 v[16:17], v[6:7], v[114:115]
	v_pk_mul_f32 v[20:21], v[20:21], s[10:11] op_sel_hi:[1,0]
	v_pk_add_f32 v[16:17], v[16:17], v[112:113]
	v_pk_add_f32 v[46:47], v[8:9], v[20:21] op_sel:[0,1] op_sel_hi:[1,0]
	v_pk_add_f32 v[8:9], v[8:9], v[20:21] op_sel:[0,1] op_sel_hi:[1,0] neg_lo:[0,1] neg_hi:[0,1]
	v_mov_b32_e32 v21, v47
	v_mov_b32_e32 v20, v8
	;; [unrolled: 1-line block ×3, first 2 shown]
	v_pk_add_f32 v[8:9], v[42:43], v[44:45]
	ds_write_b64 v196, v[20:21] offset:3600
	v_pk_fma_f32 v[8:9], v[8:9], 0.5, v[10:11] op_sel_hi:[1,0,1] neg_lo:[1,0,0] neg_hi:[1,0,0]
	v_pk_add_f32 v[10:11], v[42:43], v[44:45] neg_lo:[0,1] neg_hi:[0,1]
	ds_write_b64 v196, v[46:47] offset:7200
	ds_write2_b64 v196, v[40:41], v[50:51] offset1:135
	v_pk_mul_f32 v[10:11], v[10:11], s[10:11] op_sel_hi:[1,0]
	ds_write_b64 v196, v[56:57] offset:2160
	v_pk_add_f32 v[20:21], v[8:9], v[10:11] op_sel:[0,1] op_sel_hi:[1,0]
	v_pk_add_f32 v[8:9], v[8:9], v[10:11] op_sel:[0,1] op_sel_hi:[1,0] neg_lo:[0,1] neg_hi:[0,1]
	v_mov_b32_e32 v11, v21
	v_mov_b32_e32 v10, v8
	;; [unrolled: 1-line block ×3, first 2 shown]
	v_pk_add_f32 v[8:9], v[48:49], v[52:53]
	s_nop 0
	v_pk_fma_f32 v[4:5], v[8:9], 0.5, v[4:5] op_sel_hi:[1,0,1] neg_lo:[1,0,0] neg_hi:[1,0,0]
	v_pk_add_f32 v[8:9], v[48:49], v[52:53] neg_lo:[0,1] neg_hi:[0,1]
	s_nop 0
	v_pk_mul_f32 v[8:9], v[8:9], s[10:11] op_sel_hi:[1,0]
	s_nop 0
	v_pk_add_f32 v[40:41], v[4:5], v[8:9] op_sel:[0,1] op_sel_hi:[1,0]
	v_pk_add_f32 v[4:5], v[4:5], v[8:9] op_sel:[0,1] op_sel_hi:[1,0] neg_lo:[0,1] neg_hi:[0,1]
	v_mov_b32_e32 v9, v41
	v_mov_b32_e32 v8, v4
	;; [unrolled: 1-line block ×3, first 2 shown]
	v_pk_add_f32 v[4:5], v[114:115], v[112:113]
	ds_write2_b64 v139, v[10:11], v[8:9] offset0:73 offset1:208
	v_pk_fma_f32 v[4:5], v[4:5], 0.5, v[6:7] op_sel_hi:[1,0,1] neg_lo:[1,0,0] neg_hi:[1,0,0]
	v_pk_add_f32 v[6:7], v[114:115], v[112:113] neg_lo:[0,1] neg_hi:[0,1]
	ds_write2_b64 v183, v[20:21], v[40:41] offset0:11 offset1:146
	ds_write_b64 v123, v[16:17]
	v_pk_mul_f32 v[6:7], v[6:7], s[10:11] op_sel_hi:[1,0]
	s_nop 0
	v_pk_add_f32 v[8:9], v[4:5], v[6:7] op_sel:[0,1] op_sel_hi:[1,0] neg_lo:[0,1] neg_hi:[0,1]
	v_pk_add_f32 v[4:5], v[4:5], v[6:7] op_sel:[0,1] op_sel_hi:[1,0]
	v_mov_b32_e32 v6, v8
	v_mov_b32_e32 v7, v5
	;; [unrolled: 1-line block ×3, first 2 shown]
	ds_write_b64 v123, v[4:5] offset:7200
	v_pk_add_f32 v[4:5], v[22:23], v[104:105]
	v_pk_add_f32 v[8:9], v[24:25], v[78:79]
	;; [unrolled: 1-line block ×4, first 2 shown]
	ds_write_b64 v123, v[6:7] offset:3600
	v_mov_b32_e32 v6, v108
	v_mov_b32_e32 v7, v85
	ds_write2_b64 v107, v[4:5], v[8:9] offset0:32 offset1:167
	v_mov_b32_e32 v4, v76
	v_mov_b32_e32 v5, v75
	ds_write2_b64 v119, v[6:7], v[4:5] offset0:98 offset1:233
	v_pk_add_f32 v[4:5], v[12:13], v[66:67]
	v_mov_b32_e32 v85, v109
	v_mov_b32_e32 v75, v77
	v_pk_add_f32 v[4:5], v[4:5], v[70:71]
	ds_write2_b64 v111, v[84:85], v[74:75] offset0:36 offset1:171
	ds_write_b64 v167, v[4:5]
	v_mov_b32_e32 v4, v72
	v_mov_b32_e32 v5, v69
	ds_write_b64 v167, v[4:5] offset:3600
	v_pk_add_f32 v[4:5], v[14:15], v[58:59]
	v_mov_b32_e32 v69, v73
	v_pk_add_f32 v[4:5], v[4:5], v[62:63]
	ds_write_b64 v167, v[68:69] offset:7200
	ds_write_b64 v163, v[4:5] offset:21600
	v_mov_b32_e32 v4, v64
	v_mov_b32_e32 v5, v61
	ds_write_b64 v159, v[0:1] offset:21600
	v_mov_b32_e32 v0, v38
	v_mov_b32_e32 v1, v35
	ds_write_b64 v163, v[4:5] offset:25200
	ds_write_b64 v159, v[0:1] offset:25200
	v_pk_add_f32 v[0:1], v[2:3], v[18:19]
	v_mov_b32_e32 v61, v65
	v_pk_add_f32 v[0:1], v[0:1], v[28:29]
	v_mov_b32_e32 v35, v39
	ds_write_b64 v81, v[0:1] offset:21600
	v_mov_b32_e32 v0, v30
	v_mov_b32_e32 v1, v27
	;; [unrolled: 1-line block ×3, first 2 shown]
	ds_write_b64 v163, v[60:61] offset:28800
	ds_write_b64 v159, v[34:35] offset:28800
	;; [unrolled: 1-line block ×4, first 2 shown]
	s_waitcnt lgkmcnt(0)
	s_barrier
	ds_read2_b64 v[0:3], v196 offset1:135
	ds_read2_b64 v[4:7], v99 offset0:70 offset1:205
	ds_read2_b64 v[8:11], v151 offset0:12 offset1:147
	s_waitcnt lgkmcnt(1)
	v_pk_mul_f32 v[12:13], v[200:201], v[4:5] op_sel:[1,0]
	s_nop 0
	v_pk_fma_f32 v[18:19], v[200:201], v[4:5], v[12:13] op_sel:[0,0,1] op_sel_hi:[1,1,0]
	v_pk_fma_f32 v[4:5], v[200:201], v[4:5], v[12:13] op_sel:[0,0,1] op_sel_hi:[0,1,0] neg_lo:[0,0,1] neg_hi:[0,0,1]
	v_accvgpr_read_b32 v4, a236
	v_mov_b32_e32 v19, v5
	s_waitcnt lgkmcnt(0)
	v_pk_mul_f32 v[4:5], v[4:5], v[8:9] op_sel_hi:[0,1]
	v_pk_fma_f32 v[22:23], v[202:203], v[8:9], v[4:5] op_sel:[0,0,1] op_sel_hi:[1,1,0]
	v_pk_fma_f32 v[4:5], v[202:203], v[8:9], v[4:5] op_sel:[0,0,1] op_sel_hi:[0,1,0] neg_lo:[0,0,1] neg_hi:[0,0,1]
	v_mov_b32_e32 v23, v5
	v_pk_add_f32 v[4:5], v[0:1], v[18:19]
	s_nop 0
	v_pk_add_f32 v[56:57], v[4:5], v[22:23]
	v_pk_mul_f32 v[4:5], v[204:205], v[6:7] op_sel:[1,0]
	s_nop 0
	v_pk_fma_f32 v[16:17], v[204:205], v[6:7], v[4:5] op_sel:[0,0,1] op_sel_hi:[1,1,0]
	v_pk_fma_f32 v[4:5], v[204:205], v[6:7], v[4:5] op_sel:[0,0,1] op_sel_hi:[0,1,0] neg_lo:[0,0,1] neg_hi:[0,0,1]
	v_accvgpr_read_b32 v4, a238
	v_mov_b32_e32 v17, v5
	v_pk_mul_f32 v[4:5], v[4:5], v[10:11] op_sel_hi:[0,1]
	v_pk_fma_f32 v[20:21], v[206:207], v[10:11], v[4:5] op_sel:[0,0,1] op_sel_hi:[1,1,0]
	v_pk_fma_f32 v[4:5], v[206:207], v[10:11], v[4:5] op_sel:[0,0,1] op_sel_hi:[0,1,0] neg_lo:[0,0,1] neg_hi:[0,0,1]
	v_mov_b32_e32 v21, v5
	v_pk_add_f32 v[4:5], v[2:3], v[16:17]
	s_nop 0
	v_pk_add_f32 v[58:59], v[4:5], v[20:21]
	ds_read2_b64 v[44:47], v197 offset0:14 offset1:149
	ds_read2_b64 v[4:7], v207 offset0:84 offset1:219
	ds_read2_b64 v[8:11], v116 offset0:26 offset1:161
	s_waitcnt lgkmcnt(1)
	v_pk_mul_f32 v[12:13], v[88:89], v[4:5] op_sel:[1,0]
	s_nop 0
	v_pk_fma_f32 v[60:61], v[88:89], v[4:5], v[12:13] op_sel:[0,0,1] op_sel_hi:[1,1,0]
	v_pk_fma_f32 v[4:5], v[88:89], v[4:5], v[12:13] op_sel:[0,0,1] op_sel_hi:[0,1,0] neg_lo:[0,0,1] neg_hi:[0,0,1]
	v_accvgpr_read_b32 v4, a240
	v_mov_b32_e32 v61, v5
	s_waitcnt lgkmcnt(0)
	v_pk_mul_f32 v[4:5], v[4:5], v[8:9] op_sel_hi:[0,1]
	v_pk_fma_f32 v[62:63], v[90:91], v[8:9], v[4:5] op_sel:[0,0,1] op_sel_hi:[1,1,0]
	v_pk_fma_f32 v[4:5], v[90:91], v[8:9], v[4:5] op_sel:[0,0,1] op_sel_hi:[0,1,0] neg_lo:[0,0,1] neg_hi:[0,0,1]
	v_mov_b32_e32 v63, v5
	v_pk_add_f32 v[4:5], v[44:45], v[60:61]
	s_nop 0
	v_pk_add_f32 v[64:65], v[4:5], v[62:63]
	v_pk_mul_f32 v[4:5], v[192:193], v[6:7] op_sel:[1,0]
	s_nop 0
	v_pk_fma_f32 v[66:67], v[192:193], v[6:7], v[4:5] op_sel:[0,0,1] op_sel_hi:[1,1,0]
	v_pk_fma_f32 v[4:5], v[192:193], v[6:7], v[4:5] op_sel:[0,0,1] op_sel_hi:[0,1,0] neg_lo:[0,0,1] neg_hi:[0,0,1]
	v_accvgpr_read_b32 v4, a242
	v_mov_b32_e32 v67, v5
	v_pk_mul_f32 v[4:5], v[4:5], v[10:11] op_sel_hi:[0,1]
	v_pk_fma_f32 v[68:69], v[194:195], v[10:11], v[4:5] op_sel:[0,0,1] op_sel_hi:[1,1,0]
	v_pk_fma_f32 v[4:5], v[194:195], v[10:11], v[4:5] op_sel:[0,0,1] op_sel_hi:[0,1,0] neg_lo:[0,0,1] neg_hi:[0,0,1]
	v_mov_b32_e32 v69, v5
	v_pk_add_f32 v[4:5], v[46:47], v[66:67]
	s_nop 0
	v_pk_add_f32 v[70:71], v[4:5], v[68:69]
	ds_read2_b64 v[4:7], v139 offset0:28 offset1:163
	ds_read2_b64 v[8:11], v119 offset0:98 offset1:233
	ds_read2_b64 v[12:15], v203 offset0:40 offset1:175
	s_waitcnt lgkmcnt(1)
	v_pk_mul_f32 v[24:25], v[188:189], v[8:9] op_sel:[1,0]
	s_nop 0
	v_pk_fma_f32 v[72:73], v[188:189], v[8:9], v[24:25] op_sel:[0,0,1] op_sel_hi:[1,1,0]
	v_pk_fma_f32 v[8:9], v[188:189], v[8:9], v[24:25] op_sel:[0,0,1] op_sel_hi:[0,1,0] neg_lo:[0,0,1] neg_hi:[0,0,1]
	v_accvgpr_read_b32 v8, a244
	v_mov_b32_e32 v73, v9
	s_waitcnt lgkmcnt(0)
	v_pk_mul_f32 v[8:9], v[8:9], v[12:13] op_sel_hi:[0,1]
	v_pk_fma_f32 v[74:75], v[190:191], v[12:13], v[8:9] op_sel:[0,0,1] op_sel_hi:[1,1,0]
	v_pk_fma_f32 v[8:9], v[190:191], v[12:13], v[8:9] op_sel:[0,0,1] op_sel_hi:[0,1,0] neg_lo:[0,0,1] neg_hi:[0,0,1]
	v_mov_b32_e32 v75, v9
	v_pk_add_f32 v[8:9], v[4:5], v[72:73]
	s_nop 0
	v_pk_add_f32 v[76:77], v[8:9], v[74:75]
	v_pk_mul_f32 v[8:9], v[184:185], v[10:11] op_sel:[1,0]
	s_nop 0
	v_pk_fma_f32 v[24:25], v[184:185], v[10:11], v[8:9] op_sel:[0,0,1] op_sel_hi:[1,1,0]
	v_pk_fma_f32 v[8:9], v[184:185], v[10:11], v[8:9] op_sel:[0,0,1] op_sel_hi:[0,1,0] neg_lo:[0,0,1] neg_hi:[0,0,1]
	v_accvgpr_read_b32 v8, a246
	v_mov_b32_e32 v25, v9
	v_pk_mul_f32 v[8:9], v[8:9], v[14:15] op_sel_hi:[0,1]
	v_pk_fma_f32 v[26:27], v[186:187], v[14:15], v[8:9] op_sel:[0,0,1] op_sel_hi:[1,1,0]
	v_pk_fma_f32 v[8:9], v[186:187], v[14:15], v[8:9] op_sel:[0,0,1] op_sel_hi:[0,1,0] neg_lo:[0,0,1] neg_hi:[0,0,1]
	v_mov_b32_e32 v27, v9
	v_pk_add_f32 v[8:9], v[6:7], v[24:25]
	s_nop 0
	v_pk_add_f32 v[78:79], v[8:9], v[26:27]
	ds_read2_b64 v[8:11], v187 offset0:42 offset1:177
	ds_read2_b64 v[12:15], v122 offset0:112 offset1:247
	ds_read2_b64 v[36:39], v147 offset0:54 offset1:189
	s_waitcnt lgkmcnt(1)
	v_pk_mul_f32 v[30:31], v[180:181], v[12:13] op_sel:[1,0]
	s_nop 0
	v_pk_fma_f32 v[28:29], v[180:181], v[12:13], v[30:31] op_sel:[0,0,1] op_sel_hi:[1,1,0]
	v_pk_fma_f32 v[12:13], v[180:181], v[12:13], v[30:31] op_sel:[0,0,1] op_sel_hi:[0,1,0] neg_lo:[0,0,1] neg_hi:[0,0,1]
	v_accvgpr_read_b32 v12, a248
	v_mov_b32_e32 v29, v13
	s_waitcnt lgkmcnt(0)
	v_pk_mul_f32 v[12:13], v[12:13], v[36:37] op_sel_hi:[0,1]
	v_pk_fma_f32 v[34:35], v[182:183], v[36:37], v[12:13] op_sel:[0,0,1] op_sel_hi:[1,1,0]
	v_pk_fma_f32 v[12:13], v[182:183], v[36:37], v[12:13] op_sel:[0,0,1] op_sel_hi:[0,1,0] neg_lo:[0,0,1] neg_hi:[0,0,1]
	v_mov_b32_e32 v35, v13
	v_pk_add_f32 v[12:13], v[8:9], v[28:29]
	s_nop 0
	v_pk_add_f32 v[30:31], v[12:13], v[34:35]
	v_pk_mul_f32 v[12:13], v[92:93], v[14:15] op_sel:[1,0]
	s_nop 0
	v_pk_fma_f32 v[32:33], v[92:93], v[14:15], v[12:13] op_sel:[0,0,1] op_sel_hi:[1,1,0]
	v_pk_fma_f32 v[12:13], v[92:93], v[14:15], v[12:13] op_sel:[0,0,1] op_sel_hi:[0,1,0] neg_lo:[0,0,1] neg_hi:[0,0,1]
	v_accvgpr_read_b32 v12, a250
	v_mov_b32_e32 v33, v13
	v_pk_mul_f32 v[12:13], v[12:13], v[38:39] op_sel_hi:[0,1]
	v_pk_fma_f32 v[36:37], v[94:95], v[38:39], v[12:13] op_sel:[0,0,1] op_sel_hi:[1,1,0]
	v_pk_fma_f32 v[12:13], v[94:95], v[38:39], v[12:13] op_sel:[0,0,1] op_sel_hi:[0,1,0] neg_lo:[0,0,1] neg_hi:[0,0,1]
	v_mov_b32_e32 v37, v13
	v_pk_add_f32 v[12:13], v[10:11], v[32:33]
	s_nop 0
	v_pk_add_f32 v[40:41], v[12:13], v[36:37]
	ds_read2_b64 v[12:15], v183 offset0:56 offset1:191
	ds_read2_b64 v[48:51], v155 offset0:62 offset1:197
	ds_read2_b64 v[52:55], v195 offset0:68 offset1:203
	ds_write2_b64 v196, v[56:57], v[58:59] offset1:135
	s_waitcnt lgkmcnt(2)
	v_pk_mul_f32 v[42:43], v[96:97], v[50:51] op_sel:[1,0]
	s_nop 0
	v_pk_fma_f32 v[38:39], v[96:97], v[50:51], v[42:43] op_sel:[0,0,1] op_sel_hi:[1,1,0]
	v_pk_fma_f32 v[42:43], v[96:97], v[50:51], v[42:43] op_sel:[0,0,1] op_sel_hi:[0,1,0] neg_lo:[0,0,1] neg_hi:[0,0,1]
	v_accvgpr_read_b32 v42, a252
	s_waitcnt lgkmcnt(1)
	v_pk_mul_f32 v[50:51], v[42:43], v[54:55] op_sel_hi:[0,1]
	v_mov_b32_e32 v39, v43
	v_pk_fma_f32 v[42:43], v[98:99], v[54:55], v[50:51] op_sel:[0,0,1] op_sel_hi:[1,1,0]
	v_pk_fma_f32 v[50:51], v[98:99], v[54:55], v[50:51] op_sel:[0,0,1] op_sel_hi:[0,1,0] neg_lo:[0,0,1] neg_hi:[0,0,1]
	v_pk_add_f32 v[54:55], v[60:61], v[62:63]
	v_mov_b32_e32 v43, v51
	v_pk_fma_f32 v[44:45], v[54:55], 0.5, v[44:45] op_sel_hi:[1,0,1] neg_lo:[1,0,0] neg_hi:[1,0,0]
	v_pk_add_f32 v[54:55], v[60:61], v[62:63] neg_lo:[0,1] neg_hi:[0,1]
	v_pk_add_f32 v[50:51], v[14:15], v[38:39]
	v_pk_mul_f32 v[54:55], v[54:55], s[10:11] op_sel_hi:[1,0]
	v_pk_add_f32 v[50:51], v[50:51], v[42:43]
	v_pk_add_f32 v[56:57], v[44:45], v[54:55] op_sel:[0,1] op_sel_hi:[1,0] neg_lo:[0,1] neg_hi:[0,1]
	v_pk_add_f32 v[44:45], v[44:45], v[54:55] op_sel:[0,1] op_sel_hi:[1,0]
	v_mov_b32_e32 v54, v56
	v_mov_b32_e32 v55, v45
	ds_write_b64 v196, v[54:55] offset:12960
	ds_write2_b64 v197, v[64:65], v[70:71] offset0:14 offset1:149
	v_pk_add_f32 v[54:55], v[66:67], v[68:69]
	v_mov_b32_e32 v45, v57
	v_pk_fma_f32 v[46:47], v[54:55], 0.5, v[46:47] op_sel_hi:[1,0,1] neg_lo:[1,0,0] neg_hi:[1,0,0]
	v_pk_add_f32 v[54:55], v[66:67], v[68:69] neg_lo:[0,1] neg_hi:[0,1]
	s_nop 0
	v_pk_mul_f32 v[54:55], v[54:55], s[10:11] op_sel_hi:[1,0]
	s_nop 0
	v_pk_add_f32 v[58:59], v[46:47], v[54:55] op_sel:[0,1] op_sel_hi:[1,0] neg_lo:[0,1] neg_hi:[0,1]
	v_pk_add_f32 v[46:47], v[46:47], v[54:55] op_sel:[0,1] op_sel_hi:[1,0]
	v_mov_b32_e32 v54, v58
	v_mov_b32_e32 v55, v47
	;; [unrolled: 1-line block ×3, first 2 shown]
	v_pk_add_f32 v[58:59], v[72:73], v[74:75]
	s_nop 0
	v_pk_fma_f32 v[4:5], v[58:59], 0.5, v[4:5] op_sel_hi:[1,0,1] neg_lo:[1,0,0] neg_hi:[1,0,0]
	v_pk_add_f32 v[58:59], v[72:73], v[74:75] neg_lo:[0,1] neg_hi:[0,1]
	s_nop 0
	v_pk_mul_f32 v[58:59], v[58:59], s[10:11] op_sel_hi:[1,0]
	s_nop 0
	v_pk_add_f32 v[60:61], v[4:5], v[58:59] op_sel:[0,1] op_sel_hi:[1,0] neg_lo:[0,1] neg_hi:[0,1]
	v_pk_add_f32 v[4:5], v[4:5], v[58:59] op_sel:[0,1] op_sel_hi:[1,0]
	v_mov_b32_e32 v58, v60
	v_mov_b32_e32 v59, v5
	;; [unrolled: 1-line block ×3, first 2 shown]
	ds_write2_b64 v191, v[54:55], v[58:59] offset0:91 offset1:226
	ds_write2_b64 v95, v[46:47], v[4:5] offset0:33 offset1:168
	;; [unrolled: 1-line block ×3, first 2 shown]
	ds_write_b64 v196, v[44:45] offset:23760
	v_pk_add_f32 v[44:45], v[18:19], v[22:23]
	v_pk_add_f32 v[18:19], v[18:19], v[22:23] neg_lo:[0,1] neg_hi:[0,1]
	v_pk_fma_f32 v[0:1], v[44:45], 0.5, v[0:1] op_sel_hi:[1,0,1] neg_lo:[1,0,0] neg_hi:[1,0,0]
	v_pk_mul_f32 v[18:19], v[18:19], s[10:11] op_sel_hi:[1,0]
	v_pk_mul_f32 v[4:5], v[100:101], v[48:49] op_sel:[1,0]
	v_pk_add_f32 v[22:23], v[0:1], v[18:19] op_sel:[0,1] op_sel_hi:[1,0] neg_lo:[0,1] neg_hi:[0,1]
	v_pk_add_f32 v[0:1], v[0:1], v[18:19] op_sel:[0,1] op_sel_hi:[1,0]
	v_mov_b32_e32 v19, v23
	v_mov_b32_e32 v18, v0
	;; [unrolled: 1-line block ×3, first 2 shown]
	v_pk_add_f32 v[0:1], v[16:17], v[20:21]
	v_pk_fma_f32 v[46:47], v[100:101], v[48:49], v[4:5] op_sel:[0,0,1] op_sel_hi:[1,1,0]
	v_pk_fma_f32 v[0:1], v[0:1], 0.5, v[2:3] op_sel_hi:[1,0,1] neg_lo:[1,0,0] neg_hi:[1,0,0]
	v_pk_add_f32 v[2:3], v[16:17], v[20:21] neg_lo:[0,1] neg_hi:[0,1]
	v_pk_fma_f32 v[4:5], v[100:101], v[48:49], v[4:5] op_sel:[0,0,1] op_sel_hi:[0,1,0] neg_lo:[0,0,1] neg_hi:[0,0,1]
	v_pk_mul_f32 v[2:3], v[2:3], s[10:11] op_sel_hi:[1,0]
	v_accvgpr_read_b32 v4, a254
	v_pk_add_f32 v[16:17], v[0:1], v[2:3] op_sel:[0,1] op_sel_hi:[1,0] neg_lo:[0,1] neg_hi:[0,1]
	v_pk_add_f32 v[0:1], v[0:1], v[2:3] op_sel:[0,1] op_sel_hi:[1,0]
	v_mov_b32_e32 v3, v17
	v_mov_b32_e32 v2, v0
	ds_write2_b64 v151, v[18:19], v[2:3] offset0:12 offset1:147
	v_mov_b32_e32 v17, v1
	v_pk_add_f32 v[0:1], v[24:25], v[26:27]
	v_pk_add_f32 v[2:3], v[24:25], v[26:27] neg_lo:[0,1] neg_hi:[0,1]
	v_pk_fma_f32 v[0:1], v[0:1], 0.5, v[6:7] op_sel_hi:[1,0,1] neg_lo:[1,0,0] neg_hi:[1,0,0]
	v_pk_mul_f32 v[2:3], v[2:3], s[10:11] op_sel_hi:[1,0]
	ds_write2_b64 v99, v[22:23], v[16:17] offset0:70 offset1:205
	v_pk_add_f32 v[6:7], v[0:1], v[2:3] op_sel:[0,1] op_sel_hi:[1,0] neg_lo:[0,1] neg_hi:[0,1]
	v_pk_add_f32 v[0:1], v[0:1], v[2:3] op_sel:[0,1] op_sel_hi:[1,0]
	v_mov_b32_e32 v3, v7
	v_mov_b32_e32 v2, v0
	ds_write_b64 v196, v[2:3] offset:27000
	v_mov_b32_e32 v7, v1
	v_pk_add_f32 v[0:1], v[28:29], v[34:35]
	v_pk_add_f32 v[2:3], v[28:29], v[34:35] neg_lo:[0,1] neg_hi:[0,1]
	v_pk_fma_f32 v[0:1], v[0:1], 0.5, v[8:9] op_sel_hi:[1,0,1] neg_lo:[1,0,0] neg_hi:[1,0,0]
	v_pk_mul_f32 v[2:3], v[2:3], s[10:11] op_sel_hi:[1,0]
	v_mov_b32_e32 v47, v5
	v_pk_add_f32 v[8:9], v[0:1], v[2:3] op_sel:[0,1] op_sel_hi:[1,0] neg_lo:[0,1] neg_hi:[0,1]
	v_pk_add_f32 v[0:1], v[0:1], v[2:3] op_sel:[0,1] op_sel_hi:[1,0]
	v_mov_b32_e32 v2, v8
	v_mov_b32_e32 v3, v1
	ds_write2_b64 v91, v[6:7], v[2:3] offset0:105 offset1:240
	v_pk_add_f32 v[2:3], v[32:33], v[36:37]
	v_pk_add_f32 v[6:7], v[32:33], v[36:37] neg_lo:[0,1] neg_hi:[0,1]
	v_pk_mul_f32 v[4:5], v[4:5], v[52:53] op_sel_hi:[0,1]
	v_pk_fma_f32 v[2:3], v[2:3], 0.5, v[10:11] op_sel_hi:[1,0,1] neg_lo:[1,0,0] neg_hi:[1,0,0]
	v_pk_mul_f32 v[6:7], v[6:7], s[10:11] op_sel_hi:[1,0]
	v_pk_fma_f32 v[48:49], v[102:103], v[52:53], v[4:5] op_sel:[0,0,1] op_sel_hi:[1,1,0]
	v_pk_fma_f32 v[4:5], v[102:103], v[52:53], v[4:5] op_sel:[0,0,1] op_sel_hi:[0,1,0] neg_lo:[0,0,1] neg_hi:[0,0,1]
	v_mov_b32_e32 v1, v9
	v_pk_add_f32 v[8:9], v[2:3], v[6:7] op_sel:[0,1] op_sel_hi:[1,0] neg_lo:[0,1] neg_hi:[0,1]
	v_pk_add_f32 v[2:3], v[2:3], v[6:7] op_sel:[0,1] op_sel_hi:[1,0]
	v_mov_b32_e32 v49, v5
	v_mov_b32_e32 v7, v3
	;; [unrolled: 1-line block ×3, first 2 shown]
	ds_write2_b64 v147, v[0:1], v[2:3] offset0:54 offset1:189
	v_pk_add_f32 v[0:1], v[46:47], v[48:49]
	v_pk_add_f32 v[2:3], v[46:47], v[48:49] neg_lo:[0,1] neg_hi:[0,1]
	v_pk_fma_f32 v[0:1], v[0:1], 0.5, v[12:13] op_sel_hi:[1,0,1] neg_lo:[1,0,0] neg_hi:[1,0,0]
	v_pk_mul_f32 v[2:3], v[2:3], s[10:11] op_sel_hi:[1,0]
	v_pk_add_f32 v[4:5], v[12:13], v[46:47]
	v_mov_b32_e32 v6, v8
	v_pk_add_f32 v[8:9], v[0:1], v[2:3] op_sel:[0,1] op_sel_hi:[1,0] neg_lo:[0,1] neg_hi:[0,1]
	v_pk_add_f32 v[0:1], v[0:1], v[2:3] op_sel:[0,1] op_sel_hi:[1,0]
	v_pk_add_f32 v[4:5], v[4:5], v[48:49]
	v_mov_b32_e32 v2, v8
	v_mov_b32_e32 v3, v1
	ds_write2_b64 v131, v[6:7], v[2:3] offset0:119 offset1:254
	ds_write2_b64 v183, v[4:5], v[50:51] offset0:56 offset1:191
	v_pk_add_f32 v[2:3], v[38:39], v[42:43]
	v_pk_add_f32 v[4:5], v[38:39], v[42:43] neg_lo:[0,1] neg_hi:[0,1]
	v_pk_fma_f32 v[2:3], v[2:3], 0.5, v[14:15] op_sel_hi:[1,0,1] neg_lo:[1,0,0] neg_hi:[1,0,0]
	v_pk_mul_f32 v[4:5], v[4:5], s[10:11] op_sel_hi:[1,0]
	v_mov_b32_e32 v1, v9
	v_pk_add_f32 v[6:7], v[2:3], v[4:5] op_sel:[0,1] op_sel_hi:[1,0] neg_lo:[0,1] neg_hi:[0,1]
	v_pk_add_f32 v[2:3], v[2:3], v[4:5] op_sel:[0,1] op_sel_hi:[1,0]
	v_mov_b32_e32 v4, v6
	v_mov_b32_e32 v5, v3
	;; [unrolled: 1-line block ×3, first 2 shown]
	ds_write2_b64 v187, v[30:31], v[40:41] offset0:42 offset1:177
	ds_write_b64 v196, v[4:5] offset:20520
	ds_write2_b64 v195, v[0:1], v[2:3] offset0:68 offset1:203
	s_waitcnt lgkmcnt(0)
	s_barrier
	ds_read2_b64 v[10:13], v196 offset1:135
	v_accvgpr_read_b32 v2, a28
	v_accvgpr_read_b32 v3, a29
	;; [unrolled: 1-line block ×4, first 2 shown]
	s_waitcnt lgkmcnt(0)
	v_mul_f32_e32 v0, v3, v11
	v_fmac_f32_e32 v0, v2, v10
	v_cvt_f64_f32_e32 v[0:1], v0
	v_mul_f64 v[0:1], v[0:1], s[2:3]
	v_cvt_f32_f64_e32 v0, v[0:1]
	v_mul_f32_e32 v1, v3, v10
	v_fma_f32 v1, v2, v11, -v1
	v_cvt_f64_f32_e32 v[2:3], v1
	v_mul_f64 v[2:3], v[2:3], s[2:3]
	v_cvt_f32_f64_e32 v1, v[2:3]
	v_mad_u64_u32 v[2:3], s[4:5], s0, v80, 0
	v_mov_b32_e32 v4, v3
	v_mad_u64_u32 v[4:5], s[4:5], s1, v80, v[4:5]
	v_mov_b32_e32 v3, v4
	v_accvgpr_read_b32 v4, a6
	v_accvgpr_read_b32 v5, a7
	v_lshl_add_u64 v[4:5], v[6:7], 3, v[4:5]
	v_lshl_add_u64 v[4:5], v[2:3], 3, v[4:5]
	global_store_dwordx2 v[4:5], v[0:1], off
	ds_read2_b64 v[0:3], v197 offset0:14 offset1:149
	v_accvgpr_read_b32 v8, a18
	v_accvgpr_read_b32 v9, a19
	ds_read2_b64 v[14:17], v187 offset0:42 offset1:177
	v_accvgpr_read_b32 v10, a34
	s_waitcnt lgkmcnt(1)
	v_mul_f32_e32 v6, v9, v3
	v_fmac_f32_e32 v6, v8, v2
	v_mul_f32_e32 v2, v9, v2
	v_fma_f32 v2, v8, v3, -v2
	v_cvt_f64_f32_e32 v[6:7], v6
	v_cvt_f64_f32_e32 v[2:3], v2
	v_mul_f64 v[6:7], v[6:7], s[2:3]
	v_mul_f64 v[2:3], v[2:3], s[2:3]
	v_mov_b32_e32 v8, 0xca8
	v_cvt_f32_f64_e32 v6, v[6:7]
	v_cvt_f32_f64_e32 v7, v[2:3]
	v_mad_u64_u32 v[2:3], s[4:5], s0, v8, v[4:5]
	s_mul_i32 s4, s1, 0xca8
	s_nop 0
	v_add_u32_e32 v3, s4, v3
	global_store_dwordx2 v[2:3], v[6:7], off
	v_accvgpr_read_b32 v6, a26
	v_accvgpr_read_b32 v7, a27
	s_waitcnt lgkmcnt(0)
	v_mul_f32_e32 v4, v7, v15
	v_fmac_f32_e32 v4, v6, v14
	v_cvt_f64_f32_e32 v[4:5], v4
	v_mul_f64 v[4:5], v[4:5], s[2:3]
	v_cvt_f32_f64_e32 v4, v[4:5]
	v_mul_f32_e32 v5, v7, v14
	v_fma_f32 v5, v6, v15, -v5
	v_cvt_f64_f32_e32 v[6:7], v5
	v_mul_f64 v[6:7], v[6:7], s[2:3]
	v_cvt_f32_f64_e32 v5, v[6:7]
	v_mad_u64_u32 v[6:7], s[6:7], s0, v8, v[2:3]
	v_add_u32_e32 v7, s4, v7
	global_store_dwordx2 v[6:7], v[4:5], off
	ds_read2_b64 v[2:5], v183 offset0:56 offset1:191
	v_accvgpr_read_b32 v11, a35
	ds_read2_b64 v[18:21], v207 offset0:84 offset1:219
	v_accvgpr_read_b32 v14, a22
	v_accvgpr_read_b32 v15, a23
	s_waitcnt lgkmcnt(1)
	v_mul_f32_e32 v8, v11, v5
	v_fmac_f32_e32 v8, v10, v4
	v_mul_f32_e32 v4, v11, v4
	v_fma_f32 v4, v10, v5, -v4
	v_cvt_f64_f32_e32 v[8:9], v8
	v_cvt_f64_f32_e32 v[4:5], v4
	v_mul_f64 v[8:9], v[8:9], s[2:3]
	v_mul_f64 v[4:5], v[4:5], s[2:3]
	v_mov_b32_e32 v10, 0xca8
	v_cvt_f32_f64_e32 v8, v[8:9]
	v_cvt_f32_f64_e32 v9, v[4:5]
	v_mad_u64_u32 v[4:5], s[6:7], s0, v10, v[6:7]
	v_add_u32_e32 v5, s4, v5
	global_store_dwordx2 v[4:5], v[8:9], off
	v_accvgpr_read_b32 v8, a36
	v_accvgpr_read_b32 v9, a37
	s_waitcnt lgkmcnt(0)
	v_mul_f32_e32 v6, v9, v19
	v_fmac_f32_e32 v6, v8, v18
	v_cvt_f64_f32_e32 v[6:7], v6
	v_mul_f64 v[6:7], v[6:7], s[2:3]
	v_cvt_f32_f64_e32 v6, v[6:7]
	v_mul_f32_e32 v7, v9, v18
	v_fma_f32 v7, v8, v19, -v7
	v_cvt_f64_f32_e32 v[8:9], v7
	v_mul_f64 v[8:9], v[8:9], s[2:3]
	v_cvt_f32_f64_e32 v7, v[8:9]
	v_mad_u64_u32 v[8:9], s[6:7], s0, v10, v[4:5]
	v_add_u32_e32 v9, s4, v9
	global_store_dwordx2 v[8:9], v[6:7], off
	ds_read2_b64 v[4:7], v119 offset0:98 offset1:233
	v_mov_b32_e32 v18, 0xca8
	ds_read2_b64 v[22:25], v155 offset0:62 offset1:197
	ds_read2_b64 v[26:29], v203 offset0:40 offset1:175
	v_mov_b32_e32 v30, 0xffff9250
	s_waitcnt lgkmcnt(2)
	v_mul_f32_e32 v10, v15, v7
	v_fmac_f32_e32 v10, v14, v6
	v_mul_f32_e32 v6, v15, v6
	v_fma_f32 v6, v14, v7, -v6
	v_cvt_f64_f32_e32 v[10:11], v10
	v_cvt_f64_f32_e32 v[6:7], v6
	v_mul_f64 v[10:11], v[10:11], s[2:3]
	v_mul_f64 v[6:7], v[6:7], s[2:3]
	v_cvt_f32_f64_e32 v10, v[10:11]
	v_cvt_f32_f64_e32 v11, v[6:7]
	v_mad_u64_u32 v[6:7], s[6:7], s0, v18, v[8:9]
	v_add_u32_e32 v7, s4, v7
	global_store_dwordx2 v[6:7], v[10:11], off
	v_accvgpr_read_b32 v10, a30
	v_accvgpr_read_b32 v11, a31
	s_waitcnt lgkmcnt(1)
	v_mul_f32_e32 v8, v11, v23
	v_fmac_f32_e32 v8, v10, v22
	v_cvt_f64_f32_e32 v[8:9], v8
	v_mul_f64 v[8:9], v[8:9], s[2:3]
	v_cvt_f32_f64_e32 v8, v[8:9]
	v_mul_f32_e32 v9, v11, v22
	v_fma_f32 v9, v10, v23, -v9
	v_cvt_f64_f32_e32 v[10:11], v9
	v_mul_f64 v[10:11], v[10:11], s[2:3]
	v_cvt_f32_f64_e32 v9, v[10:11]
	v_mad_u64_u32 v[10:11], s[6:7], s0, v18, v[6:7]
	v_add_u32_e32 v11, s4, v11
	global_store_dwordx2 v[10:11], v[8:9], off
	ds_read2_b64 v[6:9], v151 offset0:12 offset1:147
	v_accvgpr_read_b32 v18, a32
	v_accvgpr_read_b32 v19, a33
	;; [unrolled: 1-line block ×4, first 2 shown]
	s_waitcnt lgkmcnt(0)
	v_mul_f32_e32 v14, v19, v9
	v_fmac_f32_e32 v14, v18, v8
	v_mul_f32_e32 v8, v19, v8
	v_fma_f32 v8, v18, v9, -v8
	v_cvt_f64_f32_e32 v[14:15], v14
	v_cvt_f64_f32_e32 v[8:9], v8
	v_mul_f64 v[14:15], v[14:15], s[2:3]
	v_mul_f64 v[8:9], v[8:9], s[2:3]
	v_mov_b32_e32 v18, 0xca8
	v_cvt_f32_f64_e32 v14, v[14:15]
	v_cvt_f32_f64_e32 v15, v[8:9]
	v_mad_u64_u32 v[8:9], s[6:7], s0, v18, v[10:11]
	v_add_u32_e32 v9, s4, v9
	global_store_dwordx2 v[8:9], v[14:15], off
	v_accvgpr_read_b32 v14, a20
	v_accvgpr_read_b32 v15, a21
	v_mul_f32_e32 v10, v15, v27
	v_fmac_f32_e32 v10, v14, v26
	v_cvt_f64_f32_e32 v[10:11], v10
	v_mul_f64 v[10:11], v[10:11], s[2:3]
	v_cvt_f32_f64_e32 v10, v[10:11]
	v_mul_f32_e32 v11, v15, v26
	v_fma_f32 v11, v14, v27, -v11
	v_cvt_f64_f32_e32 v[14:15], v11
	v_mul_f64 v[14:15], v[14:15], s[2:3]
	v_cvt_f32_f64_e32 v11, v[14:15]
	v_mad_u64_u32 v[14:15], s[6:7], s0, v18, v[8:9]
	v_add_u32_e32 v15, s4, v15
	global_store_dwordx2 v[14:15], v[10:11], off
	ds_read2_b64 v[8:11], v147 offset0:54 offset1:189
	v_mov_b32_e32 v26, 0xca8
	s_mulk_i32 s1, 0x9250
	s_sub_i32 s1, s1, s0
	v_mov_b32_e32 v31, 0xca8
	s_waitcnt lgkmcnt(0)
	v_mul_f32_e32 v18, v23, v11
	v_fmac_f32_e32 v18, v22, v10
	v_mul_f32_e32 v10, v23, v10
	v_fma_f32 v10, v22, v11, -v10
	v_cvt_f64_f32_e32 v[18:19], v18
	v_cvt_f64_f32_e32 v[10:11], v10
	v_mul_f64 v[18:19], v[18:19], s[2:3]
	v_mul_f64 v[10:11], v[10:11], s[2:3]
	v_cvt_f32_f64_e32 v18, v[18:19]
	v_cvt_f32_f64_e32 v19, v[10:11]
	v_mad_u64_u32 v[10:11], s[6:7], s0, v26, v[14:15]
	v_add_u32_e32 v11, s4, v11
	global_store_dwordx2 v[10:11], v[18:19], off
	v_accvgpr_read_b32 v18, a42
	v_accvgpr_read_b32 v19, a43
	v_mul_f32_e32 v14, v19, v13
	v_fmac_f32_e32 v14, v18, v12
	v_mul_f32_e32 v12, v19, v12
	v_fma_f32 v12, v18, v13, -v12
	v_cvt_f64_f32_e32 v[14:15], v14
	v_cvt_f64_f32_e32 v[12:13], v12
	v_mul_f64 v[14:15], v[14:15], s[2:3]
	v_mul_f64 v[12:13], v[12:13], s[2:3]
	v_cvt_f32_f64_e32 v14, v[14:15]
	v_cvt_f32_f64_e32 v15, v[12:13]
	v_mad_u64_u32 v[18:19], s[6:7], s0, v30, v[10:11]
	ds_read2_b64 v[10:13], v139 offset0:28 offset1:163
	v_accvgpr_read_b32 v22, a40
	v_add_u32_e32 v19, s1, v19
	v_accvgpr_read_b32 v23, a41
	global_store_dwordx2 v[18:19], v[14:15], off
	s_waitcnt lgkmcnt(0)
	v_mul_f32_e32 v14, v23, v11
	v_fmac_f32_e32 v14, v22, v10
	v_mul_f32_e32 v10, v23, v10
	v_fma_f32 v10, v22, v11, -v10
	v_cvt_f64_f32_e32 v[14:15], v14
	v_cvt_f64_f32_e32 v[10:11], v10
	v_mul_f64 v[14:15], v[14:15], s[2:3]
	v_mul_f64 v[10:11], v[10:11], s[2:3]
	v_mov_b32_e32 v22, 0xca8
	v_cvt_f32_f64_e32 v14, v[14:15]
	v_cvt_f32_f64_e32 v15, v[10:11]
	v_mad_u64_u32 v[10:11], s[6:7], s0, v22, v[18:19]
	v_accvgpr_read_b32 v18, a38
	v_add_u32_e32 v11, s4, v11
	v_accvgpr_read_b32 v19, a39
	global_store_dwordx2 v[10:11], v[14:15], off
	v_mul_f32_e32 v14, v19, v17
	v_fmac_f32_e32 v14, v18, v16
	v_cvt_f64_f32_e32 v[14:15], v14
	v_mul_f64 v[14:15], v[14:15], s[2:3]
	v_cvt_f32_f64_e32 v14, v[14:15]
	v_mul_f32_e32 v15, v19, v16
	v_fma_f32 v15, v18, v17, -v15
	v_cvt_f64_f32_e32 v[16:17], v15
	v_mul_f64 v[16:17], v[16:17], s[2:3]
	v_mad_u64_u32 v[10:11], s[6:7], s0, v22, v[10:11]
	v_cvt_f32_f64_e32 v15, v[16:17]
	v_add_u32_e32 v11, s4, v11
	global_store_dwordx2 v[10:11], v[14:15], off
	ds_read2_b64 v[14:17], v99 offset0:70 offset1:205
	v_accvgpr_read_b32 v22, a24
	v_accvgpr_read_b32 v23, a25
	v_mov_b32_e32 v26, 0xca8
	v_mad_u64_u32 v[10:11], s[6:7], s0, v26, v[10:11]
	s_waitcnt lgkmcnt(0)
	v_mul_f32_e32 v18, v23, v15
	v_fmac_f32_e32 v18, v22, v14
	v_mul_f32_e32 v14, v23, v14
	v_fma_f32 v14, v22, v15, -v14
	v_cvt_f64_f32_e32 v[18:19], v18
	v_cvt_f64_f32_e32 v[14:15], v14
	v_mul_f64 v[18:19], v[18:19], s[2:3]
	v_mul_f64 v[14:15], v[14:15], s[2:3]
	v_cvt_f32_f64_e32 v18, v[18:19]
	v_cvt_f32_f64_e32 v19, v[14:15]
	v_add_u32_e32 v11, s4, v11
	global_store_dwordx2 v[10:11], v[18:19], off
	v_accvgpr_read_b32 v19, a17
	v_accvgpr_read_b32 v18, a16
	v_mul_f32_e32 v14, v19, v21
	v_fmac_f32_e32 v14, v18, v20
	v_cvt_f64_f32_e32 v[14:15], v14
	v_mul_f64 v[14:15], v[14:15], s[2:3]
	v_cvt_f32_f64_e32 v14, v[14:15]
	v_mul_f32_e32 v15, v19, v20
	v_fma_f32 v15, v18, v21, -v15
	v_cvt_f64_f32_e32 v[18:19], v15
	v_mul_f64 v[18:19], v[18:19], s[2:3]
	v_cvt_f32_f64_e32 v15, v[18:19]
	ds_read2_b64 v[18:21], v122 offset0:112 offset1:247
	v_mad_u64_u32 v[10:11], s[6:7], s0, v26, v[10:11]
	v_add_u32_e32 v11, s4, v11
	v_accvgpr_read_b32 v23, a13
	global_store_dwordx2 v[10:11], v[14:15], off
	v_accvgpr_read_b32 v22, a12
	s_waitcnt lgkmcnt(0)
	v_mul_f32_e32 v14, v23, v19
	v_fmac_f32_e32 v14, v22, v18
	v_cvt_f64_f32_e32 v[14:15], v14
	v_mul_f64 v[14:15], v[14:15], s[2:3]
	v_cvt_f32_f64_e32 v14, v[14:15]
	v_mul_f32_e32 v15, v23, v18
	v_fma_f32 v15, v22, v19, -v15
	v_cvt_f64_f32_e32 v[18:19], v15
	v_mov_b32_e32 v22, 0xca8
	v_mul_f64 v[18:19], v[18:19], s[2:3]
	v_mad_u64_u32 v[10:11], s[6:7], s0, v22, v[10:11]
	v_cvt_f32_f64_e32 v15, v[18:19]
	v_add_u32_e32 v11, s4, v11
	v_accvgpr_read_b32 v19, a9
	global_store_dwordx2 v[10:11], v[14:15], off
	v_accvgpr_read_b32 v18, a8
	v_mul_f32_e32 v14, v19, v25
	v_fmac_f32_e32 v14, v18, v24
	v_cvt_f64_f32_e32 v[14:15], v14
	v_mul_f64 v[14:15], v[14:15], s[2:3]
	v_cvt_f32_f64_e32 v14, v[14:15]
	v_mul_f32_e32 v15, v19, v24
	v_fma_f32 v15, v18, v25, -v15
	v_mad_u64_u32 v[10:11], s[6:7], s0, v22, v[10:11]
	ds_read2_b64 v[22:25], v116 offset0:26 offset1:161
	v_cvt_f64_f32_e32 v[18:19], v15
	v_mul_f64 v[18:19], v[18:19], s[2:3]
	v_cvt_f32_f64_e32 v15, v[18:19]
	v_add_u32_e32 v11, s4, v11
	v_accvgpr_read_b32 v19, a5
	global_store_dwordx2 v[10:11], v[14:15], off
	v_accvgpr_read_b32 v18, a4
	s_waitcnt lgkmcnt(0)
	v_mul_f32_e32 v14, v19, v23
	v_fmac_f32_e32 v14, v18, v22
	v_cvt_f64_f32_e32 v[14:15], v14
	v_mul_f64 v[14:15], v[14:15], s[2:3]
	v_cvt_f32_f64_e32 v14, v[14:15]
	v_mul_f32_e32 v15, v19, v22
	v_fma_f32 v15, v18, v23, -v15
	v_cvt_f64_f32_e32 v[18:19], v15
	v_mul_f64 v[18:19], v[18:19], s[2:3]
	v_mad_u64_u32 v[10:11], s[6:7], s0, v31, v[10:11]
	v_cvt_f32_f64_e32 v15, v[18:19]
	v_add_u32_e32 v11, s4, v11
	v_accvgpr_read_b32 v19, a3
	global_store_dwordx2 v[10:11], v[14:15], off
	v_accvgpr_read_b32 v18, a2
	v_mul_f32_e32 v14, v19, v29
	v_fmac_f32_e32 v14, v18, v28
	v_cvt_f64_f32_e32 v[14:15], v14
	v_mul_f64 v[14:15], v[14:15], s[2:3]
	v_cvt_f32_f64_e32 v14, v[14:15]
	v_mul_f32_e32 v15, v19, v28
	v_fma_f32 v15, v18, v29, -v15
	ds_read2_b64 v[26:29], v195 offset0:68 offset1:203
	v_cvt_f64_f32_e32 v[18:19], v15
	v_mul_f64 v[18:19], v[18:19], s[2:3]
	v_mad_u64_u32 v[10:11], s[6:7], s0, v31, v[10:11]
	v_cvt_f32_f64_e32 v15, v[18:19]
	v_add_u32_e32 v11, s4, v11
	v_accvgpr_read_b32 v19, a1
	global_store_dwordx2 v[10:11], v[14:15], off
	v_accvgpr_read_b32 v18, a0
	s_waitcnt lgkmcnt(0)
	v_mul_f32_e32 v14, v19, v27
	v_fmac_f32_e32 v14, v18, v26
	v_cvt_f64_f32_e32 v[14:15], v14
	v_mul_f64 v[14:15], v[14:15], s[2:3]
	v_cvt_f32_f64_e32 v14, v[14:15]
	v_mul_f32_e32 v15, v19, v26
	v_fma_f32 v15, v18, v27, -v15
	v_cvt_f64_f32_e32 v[18:19], v15
	v_mul_f64 v[18:19], v[18:19], s[2:3]
	v_cvt_f32_f64_e32 v15, v[18:19]
	v_mad_u64_u32 v[10:11], s[6:7], s0, v31, v[10:11]
	v_accvgpr_read_b32 v18, a44
	v_add_u32_e32 v11, s4, v11
	v_accvgpr_read_b32 v19, a45
	global_store_dwordx2 v[10:11], v[14:15], off
	v_mul_f32_e32 v14, v19, v1
	v_fmac_f32_e32 v14, v18, v0
	v_mul_f32_e32 v0, v19, v0
	v_fma_f32 v0, v18, v1, -v0
	v_cvt_f64_f32_e32 v[14:15], v14
	v_cvt_f64_f32_e32 v[0:1], v0
	v_mul_f64 v[14:15], v[14:15], s[2:3]
	v_mul_f64 v[0:1], v[0:1], s[2:3]
	v_cvt_f32_f64_e32 v14, v[14:15]
	v_cvt_f32_f64_e32 v15, v[0:1]
	v_mad_u64_u32 v[0:1], s[6:7], s0, v30, v[10:11]
	v_add_u32_e32 v1, s1, v1
	global_store_dwordx2 v[0:1], v[14:15], off
	v_accvgpr_read_b32 v14, a48
	v_accvgpr_read_b32 v15, a49
	v_mul_f32_e32 v10, v15, v13
	v_fmac_f32_e32 v10, v14, v12
	v_cvt_f64_f32_e32 v[10:11], v10
	v_mul_f64 v[10:11], v[10:11], s[2:3]
	v_cvt_f32_f64_e32 v10, v[10:11]
	v_mul_f32_e32 v11, v15, v12
	v_fma_f32 v11, v14, v13, -v11
	v_cvt_f64_f32_e32 v[12:13], v11
	v_mul_f64 v[12:13], v[12:13], s[2:3]
	v_cvt_f32_f64_e32 v11, v[12:13]
	v_mad_u64_u32 v[0:1], s[6:7], s0, v31, v[0:1]
	v_accvgpr_read_b32 v12, a46
	v_add_u32_e32 v1, s4, v1
	v_accvgpr_read_b32 v13, a47
	global_store_dwordx2 v[0:1], v[10:11], off
	v_mul_f32_e32 v10, v13, v3
	v_fmac_f32_e32 v10, v12, v2
	v_mul_f32_e32 v2, v13, v2
	v_fma_f32 v2, v12, v3, -v2
	v_cvt_f64_f32_e32 v[10:11], v10
	v_cvt_f64_f32_e32 v[2:3], v2
	v_mul_f64 v[10:11], v[10:11], s[2:3]
	v_mul_f64 v[2:3], v[2:3], s[2:3]
	v_mad_u64_u32 v[0:1], s[6:7], s0, v31, v[0:1]
	v_cvt_f32_f64_e32 v10, v[10:11]
	v_cvt_f32_f64_e32 v11, v[2:3]
	v_add_u32_e32 v1, s4, v1
	global_store_dwordx2 v[0:1], v[10:11], off
	v_accvgpr_read_b32 v10, a50
	v_accvgpr_read_b32 v11, a51
	v_mul_f32_e32 v2, v11, v17
	v_fmac_f32_e32 v2, v10, v16
	v_cvt_f64_f32_e32 v[2:3], v2
	v_mul_f64 v[2:3], v[2:3], s[2:3]
	v_cvt_f32_f64_e32 v2, v[2:3]
	v_mul_f32_e32 v3, v11, v16
	v_fma_f32 v3, v10, v17, -v3
	v_cvt_f64_f32_e32 v[10:11], v3
	v_mul_f64 v[10:11], v[10:11], s[2:3]
	v_cvt_f32_f64_e32 v3, v[10:11]
	v_mad_u64_u32 v[0:1], s[6:7], s0, v31, v[0:1]
	v_accvgpr_read_b32 v10, a52
	v_add_u32_e32 v1, s4, v1
	v_accvgpr_read_b32 v11, a53
	global_store_dwordx2 v[0:1], v[2:3], off
	v_mul_f32_e32 v2, v11, v5
	v_fmac_f32_e32 v2, v10, v4
	v_cvt_f64_f32_e32 v[2:3], v2
	v_mul_f64 v[2:3], v[2:3], s[2:3]
	v_cvt_f32_f64_e32 v2, v[2:3]
	v_mul_f32_e32 v3, v11, v4
	v_fma_f32 v3, v10, v5, -v3
	v_cvt_f64_f32_e32 v[4:5], v3
	v_mul_f64 v[4:5], v[4:5], s[2:3]
	v_cvt_f32_f64_e32 v3, v[4:5]
	v_mad_u64_u32 v[0:1], s[6:7], s0, v31, v[0:1]
	v_accvgpr_read_b32 v4, a56
	v_add_u32_e32 v1, s4, v1
	v_accvgpr_read_b32 v5, a57
	global_store_dwordx2 v[0:1], v[2:3], off
	;; [unrolled: 15-line block ×6, first 2 shown]
	v_mul_f32_e32 v2, v5, v29
	v_fmac_f32_e32 v2, v4, v28
	v_cvt_f64_f32_e32 v[2:3], v2
	v_mul_f64 v[2:3], v[2:3], s[2:3]
	v_cvt_f32_f64_e32 v2, v[2:3]
	v_mul_f32_e32 v3, v5, v28
	v_fma_f32 v3, v4, v29, -v3
	v_cvt_f64_f32_e32 v[4:5], v3
	v_mul_f64 v[4:5], v[4:5], s[2:3]
	v_mad_u64_u32 v[0:1], s[0:1], s0, v31, v[0:1]
	v_cvt_f32_f64_e32 v3, v[4:5]
	v_add_u32_e32 v1, s4, v1
	global_store_dwordx2 v[0:1], v[2:3], off
.LBB0_2:
	s_endpgm
	.section	.rodata,"a",@progbits
	.p2align	6, 0x0
	.amdhsa_kernel bluestein_single_back_len4050_dim1_sp_op_CI_CI
		.amdhsa_group_segment_fixed_size 32400
		.amdhsa_private_segment_fixed_size 0
		.amdhsa_kernarg_size 104
		.amdhsa_user_sgpr_count 2
		.amdhsa_user_sgpr_dispatch_ptr 0
		.amdhsa_user_sgpr_queue_ptr 0
		.amdhsa_user_sgpr_kernarg_segment_ptr 1
		.amdhsa_user_sgpr_dispatch_id 0
		.amdhsa_user_sgpr_kernarg_preload_length 0
		.amdhsa_user_sgpr_kernarg_preload_offset 0
		.amdhsa_user_sgpr_private_segment_size 0
		.amdhsa_uses_dynamic_stack 0
		.amdhsa_enable_private_segment 0
		.amdhsa_system_sgpr_workgroup_id_x 1
		.amdhsa_system_sgpr_workgroup_id_y 0
		.amdhsa_system_sgpr_workgroup_id_z 0
		.amdhsa_system_sgpr_workgroup_info 0
		.amdhsa_system_vgpr_workitem_id 0
		.amdhsa_next_free_vgpr 511
		.amdhsa_next_free_sgpr 20
		.amdhsa_accum_offset 256
		.amdhsa_reserve_vcc 1
		.amdhsa_float_round_mode_32 0
		.amdhsa_float_round_mode_16_64 0
		.amdhsa_float_denorm_mode_32 3
		.amdhsa_float_denorm_mode_16_64 3
		.amdhsa_dx10_clamp 1
		.amdhsa_ieee_mode 1
		.amdhsa_fp16_overflow 0
		.amdhsa_tg_split 0
		.amdhsa_exception_fp_ieee_invalid_op 0
		.amdhsa_exception_fp_denorm_src 0
		.amdhsa_exception_fp_ieee_div_zero 0
		.amdhsa_exception_fp_ieee_overflow 0
		.amdhsa_exception_fp_ieee_underflow 0
		.amdhsa_exception_fp_ieee_inexact 0
		.amdhsa_exception_int_div_zero 0
	.end_amdhsa_kernel
	.text
.Lfunc_end0:
	.size	bluestein_single_back_len4050_dim1_sp_op_CI_CI, .Lfunc_end0-bluestein_single_back_len4050_dim1_sp_op_CI_CI
                                        ; -- End function
	.section	.AMDGPU.csdata,"",@progbits
; Kernel info:
; codeLenInByte = 36792
; NumSgprs: 26
; NumVgprs: 256
; NumAgprs: 255
; TotalNumVgprs: 511
; ScratchSize: 0
; MemoryBound: 0
; FloatMode: 240
; IeeeMode: 1
; LDSByteSize: 32400 bytes/workgroup (compile time only)
; SGPRBlocks: 3
; VGPRBlocks: 63
; NumSGPRsForWavesPerEU: 26
; NumVGPRsForWavesPerEU: 511
; AccumOffset: 256
; Occupancy: 1
; WaveLimiterHint : 1
; COMPUTE_PGM_RSRC2:SCRATCH_EN: 0
; COMPUTE_PGM_RSRC2:USER_SGPR: 2
; COMPUTE_PGM_RSRC2:TRAP_HANDLER: 0
; COMPUTE_PGM_RSRC2:TGID_X_EN: 1
; COMPUTE_PGM_RSRC2:TGID_Y_EN: 0
; COMPUTE_PGM_RSRC2:TGID_Z_EN: 0
; COMPUTE_PGM_RSRC2:TIDIG_COMP_CNT: 0
; COMPUTE_PGM_RSRC3_GFX90A:ACCUM_OFFSET: 63
; COMPUTE_PGM_RSRC3_GFX90A:TG_SPLIT: 0
	.text
	.p2alignl 6, 3212836864
	.fill 256, 4, 3212836864
	.type	__hip_cuid_41a2e5f26232be80,@object ; @__hip_cuid_41a2e5f26232be80
	.section	.bss,"aw",@nobits
	.globl	__hip_cuid_41a2e5f26232be80
__hip_cuid_41a2e5f26232be80:
	.byte	0                               ; 0x0
	.size	__hip_cuid_41a2e5f26232be80, 1

	.ident	"AMD clang version 19.0.0git (https://github.com/RadeonOpenCompute/llvm-project roc-6.4.0 25133 c7fe45cf4b819c5991fe208aaa96edf142730f1d)"
	.section	".note.GNU-stack","",@progbits
	.addrsig
	.addrsig_sym __hip_cuid_41a2e5f26232be80
	.amdgpu_metadata
---
amdhsa.kernels:
  - .agpr_count:     255
    .args:
      - .actual_access:  read_only
        .address_space:  global
        .offset:         0
        .size:           8
        .value_kind:     global_buffer
      - .actual_access:  read_only
        .address_space:  global
        .offset:         8
        .size:           8
        .value_kind:     global_buffer
      - .actual_access:  read_only
        .address_space:  global
        .offset:         16
        .size:           8
        .value_kind:     global_buffer
      - .actual_access:  read_only
        .address_space:  global
        .offset:         24
        .size:           8
        .value_kind:     global_buffer
      - .actual_access:  read_only
        .address_space:  global
        .offset:         32
        .size:           8
        .value_kind:     global_buffer
      - .offset:         40
        .size:           8
        .value_kind:     by_value
      - .address_space:  global
        .offset:         48
        .size:           8
        .value_kind:     global_buffer
      - .address_space:  global
        .offset:         56
        .size:           8
        .value_kind:     global_buffer
      - .address_space:  global
        .offset:         64
        .size:           8
        .value_kind:     global_buffer
      - .address_space:  global
        .offset:         72
        .size:           8
        .value_kind:     global_buffer
      - .offset:         80
        .size:           4
        .value_kind:     by_value
      - .address_space:  global
        .offset:         88
        .size:           8
        .value_kind:     global_buffer
      - .address_space:  global
        .offset:         96
        .size:           8
        .value_kind:     global_buffer
    .group_segment_fixed_size: 32400
    .kernarg_segment_align: 8
    .kernarg_segment_size: 104
    .language:       OpenCL C
    .language_version:
      - 2
      - 0
    .max_flat_workgroup_size: 135
    .name:           bluestein_single_back_len4050_dim1_sp_op_CI_CI
    .private_segment_fixed_size: 0
    .sgpr_count:     26
    .sgpr_spill_count: 0
    .symbol:         bluestein_single_back_len4050_dim1_sp_op_CI_CI.kd
    .uniform_work_group_size: 1
    .uses_dynamic_stack: false
    .vgpr_count:     511
    .vgpr_spill_count: 0
    .wavefront_size: 64
amdhsa.target:   amdgcn-amd-amdhsa--gfx950
amdhsa.version:
  - 1
  - 2
...

	.end_amdgpu_metadata
